;; amdgpu-corpus repo=ROCm/aiter kind=harvested arch=n/a opt=n/a

/root/src/amdgpu-assembly/repos/ROCm__aiter/hsa/gfx942/bf16gemm/bf16gemm_fp32bf16_tn_128x64_bshuffle_splitk_clean.co:	file format elf64-amdgpu

Disassembly of section .text:

0000000000002a00 <_ZN5aiter49bf16gemm_fp32bf16_tn_128x64_bshuffle_splitk_cleanE>:
	s_mov_b32 s53, s4                                          // 000000002A00: BEB50004
	s_and_b32 s1, s1, 0xffff                                   // 000000002A04: 8601FF01 0000FFFF
	s_load_dword s25, s[0:1], 0xe0                             // 000000002A0C: C0020640 000000E0
	s_load_dword s26, s[0:1], 0xf0                             // 000000002A14: C0020680 000000F0
	s_load_dword s27, s[0:1], 0x100                            // 000000002A1C: C00206C0 00000100
	s_load_dword s28, s[0:1], 0xa0                             // 000000002A24: C0020700 000000A0
	s_load_dword s29, s[0:1], 0xc0                             // 000000002A2C: C0020740 000000C0
	s_load_dword s30, s[0:1], 0x80                             // 000000002A34: C0020780 00000080
	s_load_dword s20, s[0:1], 0x40                             // 000000002A3C: C0020500 00000040
	s_load_dword s21, s[0:1], 0x50                             // 000000002A44: C0020540 00000050
	s_load_dwordx2 s[4:5], s[0:1], 0x20                        // 000000002A4C: C0060100 00000020
	s_load_dwordx2 s[8:9], s[0:1], 0x30                        // 000000002A54: C0060200 00000030
	s_load_dwordx2 s[12:13], s[0:1], 0x10                      // 000000002A5C: C0060300 00000010
	s_load_dwordx2 s[16:17], s[0:1], 0x0                       // 000000002A64: C0060400 00000000
	s_load_dword s52, s[0:1], 0x110                            // 000000002A6C: C0020D00 00000110
	s_load_dword s54, s[0:1], 0x120                            // 000000002A74: C0020D80 00000120
	s_load_dwordx2 s[36:37], s[0:1], 0x130                     // 000000002A7C: C0060900 00000130
	s_load_dword s61, s[0:1], 0x140                            // 000000002A84: C0020F40 00000140
	s_load_dwordx2 s[40:41], s[0:1], 0x150                     // 000000002A8C: C0060A00 00000150
	v_lshrrev_b32_e32 v1, 10, v0                               // 000000002A94: 2002008A
	v_lshrrev_b32_e32 v2, 10, v1                               // 000000002A98: 2004028A
	v_and_b32_e32 v2, 0x3ff, v2                                // 000000002A9C: 260404FF 000003FF
	v_and_b32_e32 v1, 0x3ff, v1                                // 000000002AA4: 260202FF 000003FF
	v_and_b32_e32 v0, 0x3ff, v0                                // 000000002AAC: 260000FF 000003FF
	v_lshrrev_b32_e32 v3, 6, v0                                // 000000002AB4: 20060086
	v_and_b32_e32 v0, 63, v0                                   // 000000002AB8: 260000BF
	s_mov_b32 s22, s2                                          // 000000002ABC: BE960002
	s_mov_b32 s23, s3                                          // 000000002AC0: BE970003
	v_readfirstlane_b32 s24, v3                                // 000000002AC4: 7E300503
	s_waitcnt lgkmcnt(0)                                       // 000000002AC8: BF8CC07F
	s_mov_b32 s18, -16                                         // 000000002ACC: BE9200D0
	s_mov_b32 s14, -16                                         // 000000002AD0: BE8E00D0
	s_mov_b32 s10, -16                                         // 000000002AD4: BE8A00D0
	s_mov_b32 s6, -16                                          // 000000002AD8: BE8600D0
	s_mov_b32 s38, -16                                         // 000000002ADC: BEA600D0
	s_mov_b32 s19, 0x20000                                     // 000000002AE0: BE9300FF 00020000
	s_mov_b32 s15, 0x20000                                     // 000000002AE8: BE8F00FF 00020000
	s_mov_b32 s11, 0x20000                                     // 000000002AF0: BE8B00FF 00020000
	s_mov_b32 s7, 0x20000                                      // 000000002AF8: BE8700FF 00020000
	s_mov_b32 s39, 0x20000                                     // 000000002B00: BEA700FF 00020000
	s_and_b32 s17, s17, 0xffff                                 // 000000002B08: 8611FF11 0000FFFF
	s_and_b32 s13, s13, 0xffff                                 // 000000002B10: 860DFF0D 0000FFFF
	s_and_b32 s9, s9, 0xffff                                   // 000000002B18: 8609FF09 0000FFFF
	s_and_b32 s5, s5, 0xffff                                   // 000000002B20: 8605FF05 0000FFFF
	s_and_b32 s37, s37, 0xffff                                 // 000000002B28: 8625FF25 0000FFFF
	s_or_b32 s17, s17, 0x40000                                 // 000000002B30: 8711FF11 00040000
	s_or_b32 s13, s13, 0x40000                                 // 000000002B38: 870DFF0D 00040000
	s_or_b32 s9, s9, 0x40000                                   // 000000002B40: 8709FF09 00040000
	s_or_b32 s5, s5, 0x40000                                   // 000000002B48: 8705FF05 00040000
	s_or_b32 s37, s37, 0x40000                                 // 000000002B50: 8725FF25 00040000
	s_add_u32 s31, s26, 63                                     // 000000002B58: 801FBF1A
	s_lshr_b32 s31, s31, 6                                     // 000000002B5C: 8F1F861F
	s_mul_i32 s62, s23, s31                                    // 000000002B60: 923E1F17
	s_add_u32 s62, s62, s22                                    // 000000002B64: 803E163E
	s_lshl_b32 s62, s62, 2                                     // 000000002B68: 8E3E823E
	s_cmp_eq_u32 s53, 0                                        // 000000002B6C: BF068035
	s_cbranch_scc0 label_005F                                  // 000000002B70: BF840002
	s_load_dword s63, s[40:41], s62 glc                        // 000000002B74: C0010FD4 0000003E

0000000000002b7c <label_005F>:
	s_mov_b32 s35, 0x7060302                                   // 000000002B7C: BEA300FF 07060302
	v_mov_b32_e32 v9, 0xffff0000                               // 000000002B84: 7E1202FF FFFF0000
	v_mov_b32_e32 v10, 0x7fff0000                              // 000000002B8C: 7E1402FF 7FFF0000
	v_mov_b32_e32 v11, 0x7fff                                  // 000000002B94: 7E1602FF 00007FFF
	s_mul_i32 s31, s30, s25                                    // 000000002B9C: 921F191E
	s_mov_b32 s18, s31                                         // 000000002BA0: BE92001F
	s_cmp_lt_u32 s54, 1                                        // 000000002BA4: BF0A8136
	s_cbranch_scc0 label_008D                                  // 000000002BA8: BF840022
	v_and_b32_e64 v12, v0, 15                                  // 000000002BAC: D113000C 00011F00
	v_mul_lo_u32 v12, v12, s30                                 // 000000002BB4: D285000C 00003D0C
	v_lshrrev_b32_e32 v4, 4, v0                                // 000000002BBC: 20080084
	v_mul_i32_i24_e32 v4, 16, v4                               // 000000002BC0: 0C080890
	v_add_u32_e32 v12, v4, v12                                 // 000000002BC4: 68181904
	s_mul_i32 s31, s23, 0x80                                   // 000000002BC8: 921FFF17 00000080
	s_mul_i32 s31, s31, s30                                    // 000000002BD0: 921F1E1F
	v_add_u32_e32 v12, s31, v12                                // 000000002BD4: 6818181F
	s_mul_i32 s31, s22, 64                                     // 000000002BD8: 921FC016
	s_mul_i32 s31, s31, 4                                      // 000000002BDC: 921F841F
	v_add_u32_e32 v12, s31, v12                                // 000000002BE0: 6818181F
	s_mul_i32 s31, 64, s24                                     // 000000002BE4: 921F18C0
	v_add_u32_e32 v12, s31, v12                                // 000000002BE8: 6818181F
	s_mul_i32 s31, 16, s30                                     // 000000002BEC: 921F1E90
	v_add_u32_e32 v13, s31, v12                                // 000000002BF0: 681A181F
	v_add_u32_e32 v14, s31, v13                                // 000000002BF4: 681C1A1F
	v_add_u32_e32 v15, s31, v14                                // 000000002BF8: 681E1C1F
	v_add_u32_e32 v16, s31, v15                                // 000000002BFC: 68201E1F
	v_add_u32_e32 v17, s31, v16                                // 000000002C00: 6822201F
	v_add_u32_e32 v18, s31, v17                                // 000000002C04: 6824221F
	v_add_u32_e32 v19, s31, v18                                // 000000002C08: 6826241F
	s_mul_i32 s31, s23, 0x80                                   // 000000002C0C: 921FFF17 00000080
	s_add_i32 s31, s31, s24                                    // 000000002C14: 811F181F
	s_mul_i32 s31, s31, s30                                    // 000000002C18: 921F1E1F
	s_mul_i32 s32, s22, 64                                     // 000000002C1C: 9220C016
	s_mul_i32 s32, s32, 4                                      // 000000002C20: 92208420
	s_add_i32 s31, s31, s32                                    // 000000002C24: 811F201F
	v_lshlrev_b32_e32 v20, 2, v0                               // 000000002C28: 24280082
	v_add_u32_e32 v20, s31, v20                                // 000000002C2C: 6828281F
	s_branch label_00B4                                        // 000000002C30: BF820027

0000000000002c34 <label_008D>:
	v_and_b32_e64 v12, v0, 15                                  // 000000002C34: D113000C 00011F00
	v_mul_lo_u32 v12, v12, s30                                 // 000000002C3C: D285000C 00003D0C
	v_lshrrev_b32_e32 v4, 4, v0                                // 000000002C44: 20080084
	v_mul_i32_i24_e32 v4, 8, v4                                // 000000002C48: 0C080888
	v_add_u32_e32 v12, v4, v12                                 // 000000002C4C: 68181904
	s_mul_i32 s31, s23, 0x80                                   // 000000002C50: 921FFF17 00000080
	s_mul_i32 s31, s31, s30                                    // 000000002C58: 921F1E1F
	v_add_u32_e32 v12, s31, v12                                // 000000002C5C: 6818181F
	s_mul_i32 s31, s22, 64                                     // 000000002C60: 921FC016
	s_mul_i32 s31, s31, 2                                      // 000000002C64: 921F821F
	v_add_u32_e32 v12, s31, v12                                // 000000002C68: 6818181F
	s_mul_i32 s31, 32, s24                                     // 000000002C6C: 921F18A0
	v_add_u32_e32 v12, s31, v12                                // 000000002C70: 6818181F
	s_mul_i32 s31, 16, s30                                     // 000000002C74: 921F1E90
	v_add_u32_e32 v13, s31, v12                                // 000000002C78: 681A181F
	v_add_u32_e32 v14, s31, v13                                // 000000002C7C: 681C1A1F
	v_add_u32_e32 v15, s31, v14                                // 000000002C80: 681E1C1F
	v_add_u32_e32 v16, s31, v15                                // 000000002C84: 68201E1F
	v_add_u32_e32 v17, s31, v16                                // 000000002C88: 6822201F
	v_add_u32_e32 v18, s31, v17                                // 000000002C8C: 6824221F
	v_add_u32_e32 v19, s31, v18                                // 000000002C90: 6826241F
	s_mul_i32 s31, s23, 0x80                                   // 000000002C94: 921FFF17 00000080
	s_add_i32 s31, s31, s24                                    // 000000002C9C: 811F181F
	s_mul_i32 s31, s31, s30                                    // 000000002CA0: 921F1E1F
	s_mul_i32 s32, s22, 64                                     // 000000002CA4: 9220C016
	s_mul_i32 s32, s32, 2                                      // 000000002CA8: 92208220
	s_add_i32 s31, s31, s32                                    // 000000002CAC: 811F201F
	v_lshrrev_b32_e32 v4, 5, v0                                // 000000002CB0: 20080085
	s_mul_i32 s32, s30, 4                                      // 000000002CB4: 9220841E
	v_mul_lo_u32 v4, v4, s32                                   // 000000002CB8: D2850004 00004104
	v_and_b32_e32 v5, 31, v0                                   // 000000002CC0: 260A009F
	v_lshlrev_b32_e32 v5, 2, v5                                // 000000002CC4: 240A0A82
	v_add_u32_e32 v20, v4, v5                                  // 000000002CC8: 68280B04
	v_add_u32_e32 v20, s31, v20                                // 000000002CCC: 6828281F

0000000000002cd0 <label_00B4>:
	s_cmp_eq_u32 s53, 0                                        // 000000002CD0: BF068035
	s_cbranch_scc0 label_00E4                                  // 000000002CD4: BF84002E
	s_mov_b32 s31, 0                                           // 000000002CD8: BE9F0080

0000000000002cdc <label_00B7>:
	s_waitcnt lgkmcnt(0)                                       // 000000002CDC: BF8CC07F
	s_cmp_eq_u32 s63, s31                                      // 000000002CE0: BF061F3F
	s_cbranch_scc1 label_00BD                                  // 000000002CE4: BF850003
	s_load_dword s63, s[40:41], s62 glc                        // 000000002CE8: C0010FD4 0000003E
	s_branch label_00B7                                        // 000000002CF0: BF82FFFA

0000000000002cf4 <label_00BD>:
	v_mov_b32_e32 v76, 0                                       // 000000002CF4: 7E980280
	v_mov_b32_e32 v77, 0                                       // 000000002CF8: 7E9A0280
	v_mov_b32_e32 v78, 0                                       // 000000002CFC: 7E9C0280
	v_mov_b32_e32 v79, 0                                       // 000000002D00: 7E9E0280
	s_cmp_lt_u32 s54, 1                                        // 000000002D04: BF0A8136
	s_cbranch_scc0 label_00D4                                  // 000000002D08: BF840011
	buffer_store_dwordx4 v[76:79], v12, s[16:19], 0 offen sc0 nt sc1// 000000002D0C: E07ED000 80044C0C
	buffer_store_dwordx4 v[76:79], v13, s[16:19], 0 offen sc0 nt sc1// 000000002D14: E07ED000 80044C0D
	buffer_store_dwordx4 v[76:79], v14, s[16:19], 0 offen sc0 nt sc1// 000000002D1C: E07ED000 80044C0E
	buffer_store_dwordx4 v[76:79], v15, s[16:19], 0 offen sc0 nt sc1// 000000002D24: E07ED000 80044C0F
	buffer_store_dwordx4 v[76:79], v16, s[16:19], 0 offen sc0 nt sc1// 000000002D2C: E07ED000 80044C10
	buffer_store_dwordx4 v[76:79], v17, s[16:19], 0 offen sc0 nt sc1// 000000002D34: E07ED000 80044C11
	buffer_store_dwordx4 v[76:79], v18, s[16:19], 0 offen sc0 nt sc1// 000000002D3C: E07ED000 80044C12
	buffer_store_dwordx4 v[76:79], v19, s[16:19], 0 offen sc0 nt sc1// 000000002D44: E07ED000 80044C13
	s_branch label_00E4                                        // 000000002D4C: BF820010

0000000000002d50 <label_00D4>:
	buffer_store_dwordx2 v[76:77], v12, s[16:19], 0 offen sc0 nt sc1// 000000002D50: E076D000 80044C0C
	buffer_store_dwordx2 v[76:77], v13, s[16:19], 0 offen sc0 nt sc1// 000000002D58: E076D000 80044C0D
	buffer_store_dwordx2 v[76:77], v14, s[16:19], 0 offen sc0 nt sc1// 000000002D60: E076D000 80044C0E
	buffer_store_dwordx2 v[76:77], v15, s[16:19], 0 offen sc0 nt sc1// 000000002D68: E076D000 80044C0F
	buffer_store_dwordx2 v[76:77], v16, s[16:19], 0 offen sc0 nt sc1// 000000002D70: E076D000 80044C10
	buffer_store_dwordx2 v[76:77], v17, s[16:19], 0 offen sc0 nt sc1// 000000002D78: E076D000 80044C11
	buffer_store_dwordx2 v[76:77], v18, s[16:19], 0 offen sc0 nt sc1// 000000002D80: E076D000 80044C12
	buffer_store_dwordx2 v[76:77], v19, s[16:19], 0 offen sc0 nt sc1// 000000002D88: E076D000 80044C13

0000000000002d90 <label_00E4>:
	s_mul_i32 s31, s28, s25                                    // 000000002D90: 921F191C
	s_mov_b32 s6, s31                                          // 000000002D94: BE86001F
	s_mov_b32 s44, 0x80                                        // 000000002D98: BEAC00FF 00000080
	v_lshrrev_b32_e32 v4, 5, v0                                // 000000002DA0: 20080085
	v_lshlrev_b32_e32 v4, 2, v4                                // 000000002DA4: 24080882
	v_mul_lo_u32 v21, v4, s28                                  // 000000002DA8: D2850015 00003904
	v_and_b32_e32 v4, 31, v0                                   // 000000002DB0: 2608009F
	v_lshlrev_b32_e32 v4, 2, v4                                // 000000002DB4: 24080882
	v_add_u32_e32 v21, v21, v4                                 // 000000002DB8: 682A0915
	s_mul_i32 s31, 8, s28                                      // 000000002DBC: 921F1C88
	v_add_u32_e64 v22, v21, s31                                // 000000002DC0: D1340016 00003F15
	v_add_u32_e64 v23, v22, s31                                // 000000002DC8: D1340017 00003F16
	v_add_u32_e64 v24, v23, s31                                // 000000002DD0: D1340018 00003F17
	v_add_u32_e64 v25, v24, s31                                // 000000002DD8: D1340019 00003F18
	v_add_u32_e64 v26, v25, s31                                // 000000002DE0: D134001A 00003F19
	v_add_u32_e64 v27, v26, s31                                // 000000002DE8: D134001B 00003F1A
	v_add_u32_e64 v28, v27, s31                                // 000000002DF0: D134001C 00003F1B
	v_add_u32_e64 v29, v28, s31                                // 000000002DF8: D134001D 00003F1C
	v_add_u32_e64 v30, v29, s31                                // 000000002E00: D134001E 00003F1D
	v_add_u32_e64 v31, v30, s31                                // 000000002E08: D134001F 00003F1E
	v_add_u32_e64 v32, v31, s31                                // 000000002E10: D1340020 00003F1F
	v_add_u32_e64 v33, v32, s31                                // 000000002E18: D1340021 00003F20
	v_add_u32_e64 v34, v33, s31                                // 000000002E20: D1340022 00003F21
	v_add_u32_e64 v35, v34, s31                                // 000000002E28: D1340023 00003F22
	v_add_u32_e64 v36, v35, s31                                // 000000002E30: D1340024 00003F23
	s_mul_i32 s31, s23, 0x80                                   // 000000002E38: 921FFF17 00000080
	s_add_u32 s31, s31, s24                                    // 000000002E40: 801F181F
	s_mul_i32 s32, s31, s28                                    // 000000002E44: 92201C1F
	v_add_u32_e64 v21, v21, s32                                // 000000002E48: D1340015 00004115
	v_add_u32_e64 v22, v22, s32                                // 000000002E50: D1340016 00004116
	v_add_u32_e64 v23, v23, s32                                // 000000002E58: D1340017 00004117
	v_add_u32_e64 v24, v24, s32                                // 000000002E60: D1340018 00004118
	v_add_u32_e64 v25, v25, s32                                // 000000002E68: D1340019 00004119
	v_add_u32_e64 v26, v26, s32                                // 000000002E70: D134001A 0000411A
	v_add_u32_e64 v27, v27, s32                                // 000000002E78: D134001B 0000411B
	v_add_u32_e64 v28, v28, s32                                // 000000002E80: D134001C 0000411C
	v_add_u32_e64 v29, v29, s32                                // 000000002E88: D134001D 0000411D
	v_add_u32_e64 v30, v30, s32                                // 000000002E90: D134001E 0000411E
	v_add_u32_e64 v31, v31, s32                                // 000000002E98: D134001F 0000411F
	v_add_u32_e64 v32, v32, s32                                // 000000002EA0: D1340020 00004120
	v_add_u32_e64 v33, v33, s32                                // 000000002EA8: D1340021 00004121
	v_add_u32_e64 v34, v34, s32                                // 000000002EB0: D1340022 00004122
	v_add_u32_e64 v35, v35, s32                                // 000000002EB8: D1340023 00004123
	v_add_u32_e64 v36, v36, s32                                // 000000002EC0: D1340024 00004124
	v_lshrrev_b32_e32 v4, 4, v0                                // 000000002EC8: 20080084
	v_lshlrev_b32_e32 v5, 2, v4                                // 000000002ECC: 240A0882
	v_and_b32_e32 v4, 15, v0                                   // 000000002ED0: 2608008F
	v_lshrrev_b32_e32 v6, 2, v4                                // 000000002ED4: 200C0882
	v_lshlrev_b32_e32 v6, 5, v6                                // 000000002ED8: 240C0C85
	v_add_u32_e32 v5, v6, v5                                   // 000000002EDC: 680A0B06
	v_and_b32_e32 v4, 3, v0                                    // 000000002EE0: 26080083
	v_mul_u32_u24_e32 v6, 0x408, v4                            // 000000002EE4: 100C08FF 00000408
	v_add_u32_e32 v5, v6, v5                                   // 000000002EEC: 680A0B06
	v_lshlrev_b32_e32 v37, 2, v5                               // 000000002EF0: 244A0A82
	s_mul_i32 s31, s24, 0x1020                                 // 000000002EF4: 921FFF18 00001020
	s_add_u32 s46, 0, s31                                      // 000000002EFC: 802E1F80
	s_add_u32 s47, 0x4080, s46                                 // 000000002F00: 802F2EFF 00004080
	s_add_u32 s48, 0x4080, s47                                 // 000000002F08: 80302FFF 00004080
	s_mul_i32 s31, s29, s26                                    // 000000002F10: 921F1A1D
	s_mov_b32 s10, s31                                         // 000000002F14: BE8A001F
	s_mov_b32 s45, 0x800                                       // 000000002F18: BEAD00FF 00000800
	v_lshlrev_b32_e32 v38, 4, v0                               // 000000002F20: 244C0084
	s_mov_b32 s31, 0x400                                       // 000000002F24: BE9F00FF 00000400
	v_add_u32_e64 v39, v38, s31                                // 000000002F2C: D1340027 00003F26
	s_mul_i32 s31, s22, 64                                     // 000000002F34: 921FC016
	s_mul_i32 s32, 16, s24                                     // 000000002F38: 92201890
	s_add_u32 s31, s31, s32                                    // 000000002F3C: 801F201F
	s_mul_i32 s32, s31, s29                                    // 000000002F40: 92201D1F
	v_add_u32_e64 v38, v38, s32                                // 000000002F44: D1340026 00004126
	v_add_u32_e64 v39, v39, s32                                // 000000002F4C: D1340027 00004127
	s_cmp_le_u32 s52, 1                                        // 000000002F54: BF0B8134
	s_cbranch_scc1 label_01A5                                  // 000000002F58: BF85004E
	s_lshr_b32 s32, s27, 6                                     // 000000002F5C: 8F20861B
	v_cvt_f32_u32_e32 v4, s52                                  // 000000002F60: 7E080C34
	s_sub_i32 s31, 0, s52                                      // 000000002F64: 819F3480
	v_rcp_iflag_f32_e32 v4, v4                                 // 000000002F68: 7E084704
	s_nop 0                                                    // 000000002F6C: BF800000
	v_mul_f32_e32 v4, 0x4f7ffffe, v4                           // 000000002F70: 0A0808FF 4F7FFFFE
	v_cvt_u32_f32_e32 v4, v4                                   // 000000002F78: 7E080F04
	v_mul_lo_u32 v5, s31, v4                                   // 000000002F7C: D2850005 0002081F
	v_mul_hi_u32 v5, v4, v5                                    // 000000002F84: D2860005 00020B04
	v_add_u32_e32 v4, v4, v5                                   // 000000002F8C: 68080B04
	v_mul_hi_u32 v4, s32, v4                                   // 000000002F90: D2860004 00020820
	v_mul_lo_u32 v5, v4, s52                                   // 000000002F98: D2850005 00006904
	v_sub_u32_e32 v7, s32, v5                                  // 000000002FA0: 6A0E0A20
	v_add_u32_e32 v6, 1, v4                                    // 000000002FA4: 680C0881
	v_cmp_le_u32_e32 vcc, s52, v7                              // 000000002FA8: 7D960E34
	v_subrev_u32_e32 v5, s52, v7                               // 000000002FAC: 6C0A0E34
	s_nop 0                                                    // 000000002FB0: BF800000
	v_cndmask_b32_e32 v4, v4, v6, vcc                          // 000000002FB4: 00080D04
	v_cndmask_b32_e32 v7, v7, v5, vcc                          // 000000002FB8: 000E0B07
	v_add_u32_e32 v5, 1, v4                                    // 000000002FBC: 680A0881
	v_cmp_le_u32_e32 vcc, s52, v7                              // 000000002FC0: 7D960E34
	s_nop 1                                                    // 000000002FC4: BF800001
	v_cndmask_b32_e32 v7, v4, v5, vcc                          // 000000002FC8: 000E0B04
	s_nop 3                                                    // 000000002FCC: BF800003
	v_readfirstlane_b32 s32, v7                                // 000000002FD0: 7E400507
	s_nop 3                                                    // 000000002FD4: BF800003
	s_mul_i32 s32, s32, 64                                     // 000000002FD8: 9220C020
	s_mul_i32 s31, s53, s32                                    // 000000002FDC: 921F2035
	s_sub_i32 s56, s27, s31                                    // 000000002FE0: 81B81F1B
	s_sub_i32 s31, s52, 1                                      // 000000002FE4: 819F8134
	s_cmp_eq_i32 s53, s31                                      // 000000002FE8: BF001F35
	s_cselect_b32 s27, s56, s32                                // 000000002FEC: 851B2038
	s_mul_i32 s31, s32, 2                                      // 000000002FF0: 921F8220
	s_mul_i32 s31, s31, s53                                    // 000000002FF4: 921F351F
	v_add_u32_e64 v21, v21, s31                                // 000000002FF8: D1340015 00003F15
	v_add_u32_e64 v22, v22, s31                                // 000000003000: D1340016 00003F16
	v_add_u32_e64 v23, v23, s31                                // 000000003008: D1340017 00003F17
	v_add_u32_e64 v24, v24, s31                                // 000000003010: D1340018 00003F18
	v_add_u32_e64 v25, v25, s31                                // 000000003018: D1340019 00003F19
	v_add_u32_e64 v26, v26, s31                                // 000000003020: D134001A 00003F1A
	v_add_u32_e64 v27, v27, s31                                // 000000003028: D134001B 00003F1B
	v_add_u32_e64 v28, v28, s31                                // 000000003030: D134001C 00003F1C
	v_add_u32_e64 v29, v29, s31                                // 000000003038: D134001D 00003F1D
	v_add_u32_e64 v30, v30, s31                                // 000000003040: D134001E 00003F1E
	v_add_u32_e64 v31, v31, s31                                // 000000003048: D134001F 00003F1F
	v_add_u32_e64 v32, v32, s31                                // 000000003050: D1340020 00003F20
	v_add_u32_e64 v33, v33, s31                                // 000000003058: D1340021 00003F21
	v_add_u32_e64 v34, v34, s31                                // 000000003060: D1340022 00003F22
	v_add_u32_e64 v35, v35, s31                                // 000000003068: D1340023 00003F23
	v_add_u32_e64 v36, v36, s31                                // 000000003070: D1340024 00003F24
	s_mul_i32 s31, s32, 2                                      // 000000003078: 921F8220
	s_mul_i32 s31, s31, s53                                    // 00000000307C: 921F351F
	s_mul_i32 s31, s31, 16                                     // 000000003080: 921F901F
	v_add_u32_e64 v38, v38, s31                                // 000000003084: D1340026 00003F26
	v_add_u32_e64 v39, v39, s31                                // 00000000308C: D1340027 00003F27

0000000000003094 <label_01A5>:
	s_cmp_eq_u32 s61, 1                                        // 000000003094: BF06813D
	s_cbranch_scc0 label_01E8                                  // 000000003098: BF840041
	s_cmp_eq_i32 s53, 0                                        // 00000000309C: BF008035
	s_cbranch_scc0 label_01E8                                  // 0000000030A0: BF84003F
	s_mul_i32 s31, 2, s26                                      // 0000000030A4: 921F1A82
	s_mov_b32 s38, s31                                         // 0000000030A8: BEA6001F
	v_lshrrev_b32_e32 v4, 4, v0                                // 0000000030AC: 20080084
	v_mul_i32_i24_e32 v92, 8, v4                               // 0000000030B0: 0CB80888
	s_mul_i32 s31, 32, s24                                     // 0000000030B4: 921F18A0
	v_add_u32_e32 v92, s31, v92                                // 0000000030B8: 68B8B81F
	s_mul_i32 s32, s22, 64                                     // 0000000030BC: 9220C016
	s_mul_i32 s32, s32, 2                                      // 0000000030C0: 92208220
	v_add_u32_e32 v92, s32, v92                                // 0000000030C4: 68B8B820
	v_mov_b32_e32 v94, 0                                       // 0000000030C8: 7EBC0280
	v_mov_b32_e32 v95, 0                                       // 0000000030CC: 7EBE0280
	buffer_load_dwordx2 v[94:95], v92, s[36:39], 0 offen       // 0000000030D0: E0541000 80095E5C
	s_waitcnt vmcnt(0)                                         // 0000000030D8: BF8C0F70
	v_mov_b32_e32 v4, 0xffff0000                               // 0000000030DC: 7E0802FF FFFF0000
	v_and_b32_e32 v4, v94, v4                                  // 0000000030E4: 2608095E
	v_mov_b32_e32 v5, 0xffff                                   // 0000000030E8: 7E0A02FF 0000FFFF
	v_and_b32_e32 v5, v94, v5                                  // 0000000030F0: 260A0B5E
	v_mov_b32_e32 v97, v4                                      // 0000000030F4: 7EC20304
	v_lshlrev_b32_e32 v96, 16, v5                              // 0000000030F8: 24C00A90
	v_mov_b32_e32 v4, 0xffff0000                               // 0000000030FC: 7E0802FF FFFF0000
	v_and_b32_e32 v4, v95, v4                                  // 000000003104: 2608095F
	v_mov_b32_e32 v5, 0xffff                                   // 000000003108: 7E0A02FF 0000FFFF
	v_and_b32_e32 v5, v95, v5                                  // 000000003110: 260A0B5F
	v_mov_b32_e32 v99, v4                                      // 000000003114: 7EC60304
	v_lshlrev_b32_e32 v98, 16, v5                              // 000000003118: 24C40A90
	v_mov_b32_e32 v44, v96                                     // 00000000311C: 7E580360
	v_mov_b32_e32 v45, v97                                     // 000000003120: 7E5A0361
	v_mov_b32_e32 v46, v98                                     // 000000003124: 7E5C0362
	v_mov_b32_e32 v47, v99                                     // 000000003128: 7E5E0363
	v_mov_b32_e32 v48, v96                                     // 00000000312C: 7E600360
	v_mov_b32_e32 v49, v97                                     // 000000003130: 7E620361
	v_mov_b32_e32 v50, v98                                     // 000000003134: 7E640362
	v_mov_b32_e32 v51, v99                                     // 000000003138: 7E660363
	v_mov_b32_e32 v52, v96                                     // 00000000313C: 7E680360
	v_mov_b32_e32 v53, v97                                     // 000000003140: 7E6A0361
	v_mov_b32_e32 v54, v98                                     // 000000003144: 7E6C0362
	v_mov_b32_e32 v55, v99                                     // 000000003148: 7E6E0363
	v_mov_b32_e32 v56, v96                                     // 00000000314C: 7E700360
	v_mov_b32_e32 v57, v97                                     // 000000003150: 7E720361
	v_mov_b32_e32 v58, v98                                     // 000000003154: 7E740362
	v_mov_b32_e32 v59, v99                                     // 000000003158: 7E760363
	v_mov_b32_e32 v60, v96                                     // 00000000315C: 7E780360
	v_mov_b32_e32 v61, v97                                     // 000000003160: 7E7A0361
	v_mov_b32_e32 v62, v98                                     // 000000003164: 7E7C0362
	v_mov_b32_e32 v63, v99                                     // 000000003168: 7E7E0363
	v_mov_b32_e32 v64, v96                                     // 00000000316C: 7E800360
	v_mov_b32_e32 v65, v97                                     // 000000003170: 7E820361
	v_mov_b32_e32 v66, v98                                     // 000000003174: 7E840362
	v_mov_b32_e32 v67, v99                                     // 000000003178: 7E860363
	v_mov_b32_e32 v68, v96                                     // 00000000317C: 7E880360
	v_mov_b32_e32 v69, v97                                     // 000000003180: 7E8A0361
	v_mov_b32_e32 v70, v98                                     // 000000003184: 7E8C0362
	v_mov_b32_e32 v71, v99                                     // 000000003188: 7E8E0363
	v_mov_b32_e32 v72, v96                                     // 00000000318C: 7E900360
	v_mov_b32_e32 v73, v97                                     // 000000003190: 7E920361
	v_mov_b32_e32 v74, v98                                     // 000000003194: 7E940362
	v_mov_b32_e32 v75, v99                                     // 000000003198: 7E960363
	s_branch label_0208                                        // 00000000319C: BF820020

00000000000031a0 <label_01E8>:
	v_mov_b32_e32 v44, 0                                       // 0000000031A0: 7E580280
	v_mov_b32_e32 v45, 0                                       // 0000000031A4: 7E5A0280
	v_mov_b32_e32 v46, 0                                       // 0000000031A8: 7E5C0280
	v_mov_b32_e32 v47, 0                                       // 0000000031AC: 7E5E0280
	v_mov_b32_e32 v48, 0                                       // 0000000031B0: 7E600280
	v_mov_b32_e32 v49, 0                                       // 0000000031B4: 7E620280
	v_mov_b32_e32 v50, 0                                       // 0000000031B8: 7E640280
	v_mov_b32_e32 v51, 0                                       // 0000000031BC: 7E660280
	v_mov_b32_e32 v52, 0                                       // 0000000031C0: 7E680280
	v_mov_b32_e32 v53, 0                                       // 0000000031C4: 7E6A0280
	v_mov_b32_e32 v54, 0                                       // 0000000031C8: 7E6C0280
	v_mov_b32_e32 v55, 0                                       // 0000000031CC: 7E6E0280
	v_mov_b32_e32 v56, 0                                       // 0000000031D0: 7E700280
	v_mov_b32_e32 v57, 0                                       // 0000000031D4: 7E720280
	v_mov_b32_e32 v58, 0                                       // 0000000031D8: 7E740280
	v_mov_b32_e32 v59, 0                                       // 0000000031DC: 7E760280
	v_mov_b32_e32 v60, 0                                       // 0000000031E0: 7E780280
	v_mov_b32_e32 v61, 0                                       // 0000000031E4: 7E7A0280
	v_mov_b32_e32 v62, 0                                       // 0000000031E8: 7E7C0280
	v_mov_b32_e32 v63, 0                                       // 0000000031EC: 7E7E0280
	v_mov_b32_e32 v64, 0                                       // 0000000031F0: 7E800280
	v_mov_b32_e32 v65, 0                                       // 0000000031F4: 7E820280
	v_mov_b32_e32 v66, 0                                       // 0000000031F8: 7E840280
	v_mov_b32_e32 v67, 0                                       // 0000000031FC: 7E860280
	v_mov_b32_e32 v68, 0                                       // 000000003200: 7E880280
	v_mov_b32_e32 v69, 0                                       // 000000003204: 7E8A0280
	v_mov_b32_e32 v70, 0                                       // 000000003208: 7E8C0280
	v_mov_b32_e32 v71, 0                                       // 00000000320C: 7E8E0280
	v_mov_b32_e32 v72, 0                                       // 000000003210: 7E900280
	v_mov_b32_e32 v73, 0                                       // 000000003214: 7E920280
	v_mov_b32_e32 v74, 0                                       // 000000003218: 7E940280
	v_mov_b32_e32 v75, 0                                       // 00000000321C: 7E960280

0000000000003220 <label_0208>:
	s_add_u32 m0, 0, s46                                       // 000000003220: 807C2E80
	buffer_load_dword v21, s[4:7], 0 offen lds                 // 000000003224: E0511000 80010015
	s_add_u32 m0, 0x100, s46                                   // 00000000322C: 807C2EFF 00000100
	buffer_load_dword v22, s[4:7], 0 offen lds                 // 000000003234: E0511000 80010016
	s_add_u32 m0, 0x200, s46                                   // 00000000323C: 807C2EFF 00000200
	buffer_load_dword v23, s[4:7], 0 offen lds                 // 000000003244: E0511000 80010017
	s_add_u32 m0, 0x300, s46                                   // 00000000324C: 807C2EFF 00000300
	buffer_load_dword v24, s[4:7], 0 offen lds                 // 000000003254: E0511000 80010018
	s_add_u32 m0, 0x400, s46                                   // 00000000325C: 807C2EFF 00000400
	buffer_load_dword v25, s[4:7], 0 offen lds                 // 000000003264: E0511000 80010019
	s_add_u32 m0, 0x500, s46                                   // 00000000326C: 807C2EFF 00000500
	buffer_load_dword v26, s[4:7], 0 offen lds                 // 000000003274: E0511000 8001001A
	s_add_u32 m0, 0x600, s46                                   // 00000000327C: 807C2EFF 00000600
	buffer_load_dword v27, s[4:7], 0 offen lds                 // 000000003284: E0511000 8001001B
	s_add_u32 m0, 0x700, s46                                   // 00000000328C: 807C2EFF 00000700
	buffer_load_dword v28, s[4:7], 0 offen lds                 // 000000003294: E0511000 8001001C
	s_add_u32 m0, 0x800, s46                                   // 00000000329C: 807C2EFF 00000800
	buffer_load_dword v29, s[4:7], 0 offen lds                 // 0000000032A4: E0511000 8001001D
	s_add_u32 m0, 0x900, s46                                   // 0000000032AC: 807C2EFF 00000900
	buffer_load_dword v30, s[4:7], 0 offen lds                 // 0000000032B4: E0511000 8001001E
	s_add_u32 m0, 0xa00, s46                                   // 0000000032BC: 807C2EFF 00000A00
	buffer_load_dword v31, s[4:7], 0 offen lds                 // 0000000032C4: E0511000 8001001F
	s_add_u32 m0, 0xb00, s46                                   // 0000000032CC: 807C2EFF 00000B00
	buffer_load_dword v32, s[4:7], 0 offen lds                 // 0000000032D4: E0511000 80010020
	s_add_u32 m0, 0xc00, s46                                   // 0000000032DC: 807C2EFF 00000C00
	buffer_load_dword v33, s[4:7], 0 offen lds                 // 0000000032E4: E0511000 80010021
	s_add_u32 m0, 0xd00, s46                                   // 0000000032EC: 807C2EFF 00000D00
	buffer_load_dword v34, s[4:7], 0 offen lds                 // 0000000032F4: E0511000 80010022
	s_add_u32 m0, 0xe00, s46                                   // 0000000032FC: 807C2EFF 00000E00
	buffer_load_dword v35, s[4:7], 0 offen lds                 // 000000003304: E0511000 80010023
	s_add_u32 m0, 0xf00, s46                                   // 00000000330C: 807C2EFF 00000F00
	buffer_load_dword v36, s[4:7], 0 offen lds                 // 000000003314: E0511000 80010024
	s_add_u32 s4, s44, s4                                      // 00000000331C: 8004042C
	s_addc_u32 s5, 0, s5                                       // 000000003320: 82050580
	s_sub_u32 s6, s6, s44                                      // 000000003324: 80862C06
	buffer_load_dwordx4 a[128:131], v38, s[8:11], 0 offen      // 000000003328: E05C1000 80828026
	buffer_load_dwordx4 a[132:135], v39, s[8:11], 0 offen      // 000000003330: E05C1000 80828427
	s_add_u32 s8, s45, s8                                      // 000000003338: 8008082D
	s_addc_u32 s9, 0, s9                                       // 00000000333C: 82090980
	s_sub_u32 s10, s10, s45                                    // 000000003340: 808A2D0A
	s_add_u32 m0, 0, s47                                       // 000000003344: 807C2F80
	buffer_load_dword v21, s[4:7], 0 offen lds                 // 000000003348: E0511000 80010015
	s_add_u32 m0, 0x100, s47                                   // 000000003350: 807C2FFF 00000100
	buffer_load_dword v22, s[4:7], 0 offen lds                 // 000000003358: E0511000 80010016
	s_add_u32 m0, 0x200, s47                                   // 000000003360: 807C2FFF 00000200
	;; [unrolled: 2-line block ×5, first 2 shown]
	buffer_load_dword v26, s[4:7], 0 offen lds                 // 000000003398: E0511000 8001001A
	s_add_u32 m0, 0x600, s47                                   // 0000000033A0: 807C2FFF 00000600
	buffer_load_dword v27, s[4:7], 0 offen lds                 // 0000000033A8: E0511000 8001001B
	s_add_u32 m0, 0x700, s47                                   // 0000000033B0: 807C2FFF 00000700
	buffer_load_dword v28, s[4:7], 0 offen lds                 // 0000000033B8: E0511000 8001001C
	s_add_u32 m0, 0x800, s47                                   // 0000000033C0: 807C2FFF 00000800
	buffer_load_dword v29, s[4:7], 0 offen lds                 // 0000000033C8: E0511000 8001001D
	s_add_u32 m0, 0x900, s47                                   // 0000000033D0: 807C2FFF 00000900
	buffer_load_dword v30, s[4:7], 0 offen lds                 // 0000000033D8: E0511000 8001001E
	s_add_u32 m0, 0xa00, s47                                   // 0000000033E0: 807C2FFF 00000A00
	buffer_load_dword v31, s[4:7], 0 offen lds                 // 0000000033E8: E0511000 8001001F
	s_add_u32 m0, 0xb00, s47                                   // 0000000033F0: 807C2FFF 00000B00
	buffer_load_dword v32, s[4:7], 0 offen lds                 // 0000000033F8: E0511000 80010020
	s_add_u32 m0, 0xc00, s47                                   // 000000003400: 807C2FFF 00000C00
	buffer_load_dword v33, s[4:7], 0 offen lds                 // 000000003408: E0511000 80010021
	s_add_u32 m0, 0xd00, s47                                   // 000000003410: 807C2FFF 00000D00
	buffer_load_dword v34, s[4:7], 0 offen lds                 // 000000003418: E0511000 80010022
	s_add_u32 m0, 0xe00, s47                                   // 000000003420: 807C2FFF 00000E00
	buffer_load_dword v35, s[4:7], 0 offen lds                 // 000000003428: E0511000 80010023
	s_add_u32 m0, 0xf00, s47                                   // 000000003430: 807C2FFF 00000F00
	buffer_load_dword v36, s[4:7], 0 offen lds                 // 000000003438: E0511000 80010024
	s_add_u32 s4, s44, s4                                      // 000000003440: 8004042C
	s_addc_u32 s5, 0, s5                                       // 000000003444: 82050580
	s_sub_u32 s6, s6, s44                                      // 000000003448: 80862C06
	buffer_load_dwordx4 a[136:139], v38, s[8:11], 0 offen      // 00000000344C: E05C1000 80828826
	buffer_load_dwordx4 a[140:143], v39, s[8:11], 0 offen      // 000000003454: E05C1000 80828C27
	s_add_u32 s8, s45, s8                                      // 00000000345C: 8008082D
	s_addc_u32 s9, 0, s9                                       // 000000003460: 82090980
	s_sub_u32 s10, s10, s45                                    // 000000003464: 808A2D0A
	s_add_u32 m0, 0, s48                                       // 000000003468: 807C3080
	buffer_load_dword v21, s[4:7], 0 offen lds                 // 00000000346C: E0511000 80010015
	s_add_u32 m0, 0x100, s48                                   // 000000003474: 807C30FF 00000100
	buffer_load_dword v22, s[4:7], 0 offen lds                 // 00000000347C: E0511000 80010016
	s_add_u32 m0, 0x200, s48                                   // 000000003484: 807C30FF 00000200
	buffer_load_dword v23, s[4:7], 0 offen lds                 // 00000000348C: E0511000 80010017
	s_add_u32 m0, 0x300, s48                                   // 000000003494: 807C30FF 00000300
	buffer_load_dword v24, s[4:7], 0 offen lds                 // 00000000349C: E0511000 80010018
	s_add_u32 m0, 0x400, s48                                   // 0000000034A4: 807C30FF 00000400
	buffer_load_dword v25, s[4:7], 0 offen lds                 // 0000000034AC: E0511000 80010019
	s_add_u32 m0, 0x500, s48                                   // 0000000034B4: 807C30FF 00000500
	buffer_load_dword v26, s[4:7], 0 offen lds                 // 0000000034BC: E0511000 8001001A
	s_add_u32 m0, 0x600, s48                                   // 0000000034C4: 807C30FF 00000600
	buffer_load_dword v27, s[4:7], 0 offen lds                 // 0000000034CC: E0511000 8001001B
	s_add_u32 m0, 0x700, s48                                   // 0000000034D4: 807C30FF 00000700
	buffer_load_dword v28, s[4:7], 0 offen lds                 // 0000000034DC: E0511000 8001001C
	s_add_u32 m0, 0x800, s48                                   // 0000000034E4: 807C30FF 00000800
	buffer_load_dword v29, s[4:7], 0 offen lds                 // 0000000034EC: E0511000 8001001D
	s_add_u32 m0, 0x900, s48                                   // 0000000034F4: 807C30FF 00000900
	buffer_load_dword v30, s[4:7], 0 offen lds                 // 0000000034FC: E0511000 8001001E
	s_add_u32 m0, 0xa00, s48                                   // 000000003504: 807C30FF 00000A00
	buffer_load_dword v31, s[4:7], 0 offen lds                 // 00000000350C: E0511000 8001001F
	s_add_u32 m0, 0xb00, s48                                   // 000000003514: 807C30FF 00000B00
	buffer_load_dword v32, s[4:7], 0 offen lds                 // 00000000351C: E0511000 80010020
	s_add_u32 m0, 0xc00, s48                                   // 000000003524: 807C30FF 00000C00
	buffer_load_dword v33, s[4:7], 0 offen lds                 // 00000000352C: E0511000 80010021
	s_add_u32 m0, 0xd00, s48                                   // 000000003534: 807C30FF 00000D00
	buffer_load_dword v34, s[4:7], 0 offen lds                 // 00000000353C: E0511000 80010022
	s_add_u32 m0, 0xe00, s48                                   // 000000003544: 807C30FF 00000E00
	buffer_load_dword v35, s[4:7], 0 offen lds                 // 00000000354C: E0511000 80010023
	s_add_u32 m0, 0xf00, s48                                   // 000000003554: 807C30FF 00000F00
	buffer_load_dword v36, s[4:7], 0 offen lds                 // 00000000355C: E0511000 80010024
	s_add_u32 s4, s44, s4                                      // 000000003564: 8004042C
	s_addc_u32 s5, 0, s5                                       // 000000003568: 82050580
	s_sub_u32 s6, s6, s44                                      // 00000000356C: 80862C06
	s_mov_b32 s34, s27                                         // 000000003570: BEA2001B
	s_mov_b32 s33, 0                                           // 000000003574: BEA10080
	s_mul_i32 s31, s23, 0x80                                   // 000000003578: 921FFF17 00000080
	s_sub_i32 s55, s25, s31                                    // 000000003580: 81B71F19
	s_waitcnt vmcnt(36)                                        // 000000003584: BF8C8F74
	s_barrier                                                  // 000000003588: BF8A0000
	s_or_b32 s31, s53, s24                                     // 00000000358C: 871F1835
	s_cmp_eq_u32 s31, 0                                        // 000000003590: BF06801F
	s_cbranch_scc0 label_02E8                                  // 000000003594: BF840002
	s_store_dword s52, s[40:41], s62 glc                       // 000000003598: C0410D14 0000003E

00000000000035a0 <label_02E8>:
	ds_read_b128 a[0:3], v37                                   // 0000000035A0: DBFE0000 00000025
	ds_read_b128 a[4:7], v37 offset:64                         // 0000000035A8: DBFE0040 04000025
	ds_read_b128 a[8:11], v37 offset:512                       // 0000000035B0: DBFE0200 08000025
	ds_read_b128 a[12:15], v37 offset:576                      // 0000000035B8: DBFE0240 0C000025
	ds_read_b128 a[16:19], v37 offset:1024                     // 0000000035C0: DBFE0400 10000025
	ds_read_b128 a[20:23], v37 offset:1088                     // 0000000035C8: DBFE0440 14000025
	ds_read_b128 a[24:27], v37 offset:1536                     // 0000000035D0: DBFE0600 18000025
	ds_read_b128 a[28:31], v37 offset:1600                     // 0000000035D8: DBFE0640 1C000025
	ds_read_b128 a[32:35], v37 offset:2048                     // 0000000035E0: DBFE0800 20000025
	ds_read_b128 a[36:39], v37 offset:2112                     // 0000000035E8: DBFE0840 24000025
	ds_read_b128 a[40:43], v37 offset:2560                     // 0000000035F0: DBFE0A00 28000025
	ds_read_b128 a[44:47], v37 offset:2624                     // 0000000035F8: DBFE0A40 2C000025
	ds_read_b128 a[48:51], v37 offset:3072                     // 000000003600: DBFE0C00 30000025
	ds_read_b128 a[52:55], v37 offset:3136                     // 000000003608: DBFE0C40 34000025
	ds_read_b128 a[56:59], v37 offset:3584                     // 000000003610: DBFE0E00 38000025
	ds_read_b128 a[60:63], v37 offset:3648                     // 000000003618: DBFE0E40 3C000025
	s_cmp_lt_i32 s24, 2                                        // 000000003620: BF048218
	s_cbranch_scc0 label_0743                                  // 000000003624: BF840439

0000000000003628 <label_030A>:
	s_waitcnt vmcnt(18) lgkmcnt(0)                             // 000000003628: BF8C4072
	s_barrier                                                  // 00000000362C: BF8A0000
	v_mfma_f32_16x16x16_bf16 v[44:47], a[128:129], a[0:1], v[44:47]// 000000003630: D3E1002C 1CB20180
	s_add_u32 m0, 0, s46                                       // 000000003638: 807C2E80
	buffer_load_dword v21, s[4:7], 0 offen lds                 // 00000000363C: E0511000 80010015
	v_mfma_f32_16x16x16_bf16 v[44:47], a[130:131], a[2:3], v[44:47]// 000000003644: D3E1002C 1CB20582
	s_add_u32 m0, 0x100, s46                                   // 00000000364C: 807C2EFF 00000100
	buffer_load_dword v22, s[4:7], 0 offen lds                 // 000000003654: E0511000 80010016
	ds_read_b128 a[64:67], v37 offset:16512                    // 00000000365C: DBFE4080 40000025
	ds_read_b128 a[68:71], v37 offset:16576                    // 000000003664: DBFE40C0 44000025
	v_mfma_f32_16x16x16_bf16 v[44:47], a[132:133], a[4:5], v[44:47]// 00000000366C: D3E1002C 1CB20984
	s_add_u32 m0, 0x200, s46                                   // 000000003674: 807C2EFF 00000200
	buffer_load_dword v23, s[4:7], 0 offen lds                 // 00000000367C: E0511000 80010017
	v_mfma_f32_16x16x16_bf16 v[44:47], a[134:135], a[6:7], v[44:47]// 000000003684: D3E1002C 1CB20D86
	s_add_u32 m0, 0x300, s46                                   // 00000000368C: 807C2EFF 00000300
	buffer_load_dword v24, s[4:7], 0 offen lds                 // 000000003694: E0511000 80010018
	ds_read_b128 a[72:75], v37 offset:17024                    // 00000000369C: DBFE4280 48000025
	ds_read_b128 a[76:79], v37 offset:17088                    // 0000000036A4: DBFE42C0 4C000025
	v_mfma_f32_16x16x16_bf16 v[48:51], a[128:129], a[8:9], v[48:51]// 0000000036AC: D3E10030 1CC21180
	s_add_u32 m0, 0x400, s46                                   // 0000000036B4: 807C2EFF 00000400
	buffer_load_dword v25, s[4:7], 0 offen lds                 // 0000000036BC: E0511000 80010019
	v_mfma_f32_16x16x16_bf16 v[48:51], a[130:131], a[10:11], v[48:51]// 0000000036C4: D3E10030 1CC21582
	s_add_u32 m0, 0x500, s46                                   // 0000000036CC: 807C2EFF 00000500
	buffer_load_dword v26, s[4:7], 0 offen lds                 // 0000000036D4: E0511000 8001001A
	ds_read_b128 a[80:83], v37 offset:17536                    // 0000000036DC: DBFE4480 50000025
	ds_read_b128 a[84:87], v37 offset:17600                    // 0000000036E4: DBFE44C0 54000025
	v_mfma_f32_16x16x16_bf16 v[48:51], a[132:133], a[12:13], v[48:51]// 0000000036EC: D3E10030 1CC21984
	s_add_u32 m0, 0x600, s46                                   // 0000000036F4: 807C2EFF 00000600
	buffer_load_dword v27, s[4:7], 0 offen lds                 // 0000000036FC: E0511000 8001001B
	v_mfma_f32_16x16x16_bf16 v[48:51], a[134:135], a[14:15], v[48:51]// 000000003704: D3E10030 1CC21D86
	s_add_u32 m0, 0x700, s46                                   // 00000000370C: 807C2EFF 00000700
	buffer_load_dword v28, s[4:7], 0 offen lds                 // 000000003714: E0511000 8001001C
	ds_read_b128 a[88:91], v37 offset:18048                    // 00000000371C: DBFE4680 58000025
	ds_read_b128 a[92:95], v37 offset:18112                    // 000000003724: DBFE46C0 5C000025
	v_mfma_f32_16x16x16_bf16 v[52:55], a[128:129], a[16:17], v[52:55]// 00000000372C: D3E10034 1CD22180
	s_add_u32 m0, 0x800, s46                                   // 000000003734: 807C2EFF 00000800
	buffer_load_dword v29, s[4:7], 0 offen lds                 // 00000000373C: E0511000 8001001D
	v_mfma_f32_16x16x16_bf16 v[52:55], a[130:131], a[18:19], v[52:55]// 000000003744: D3E10034 1CD22582
	s_add_u32 m0, 0x900, s46                                   // 00000000374C: 807C2EFF 00000900
	buffer_load_dword v30, s[4:7], 0 offen lds                 // 000000003754: E0511000 8001001E
	ds_read_b128 a[96:99], v37 offset:18560                    // 00000000375C: DBFE4880 60000025
	ds_read_b128 a[100:103], v37 offset:18624                  // 000000003764: DBFE48C0 64000025
	v_mfma_f32_16x16x16_bf16 v[52:55], a[132:133], a[20:21], v[52:55]// 00000000376C: D3E10034 1CD22984
	s_add_u32 m0, 0xa00, s46                                   // 000000003774: 807C2EFF 00000A00
	buffer_load_dword v31, s[4:7], 0 offen lds                 // 00000000377C: E0511000 8001001F
	v_mfma_f32_16x16x16_bf16 v[52:55], a[134:135], a[22:23], v[52:55]// 000000003784: D3E10034 1CD22D86
	s_add_u32 m0, 0xb00, s46                                   // 00000000378C: 807C2EFF 00000B00
	buffer_load_dword v32, s[4:7], 0 offen lds                 // 000000003794: E0511000 80010020
	ds_read_b128 a[104:107], v37 offset:19072                  // 00000000379C: DBFE4A80 68000025
	ds_read_b128 a[108:111], v37 offset:19136                  // 0000000037A4: DBFE4AC0 6C000025
	v_mfma_f32_16x16x16_bf16 v[56:59], a[128:129], a[24:25], v[56:59]// 0000000037AC: D3E10038 1CE23180
	s_add_u32 m0, 0xc00, s46                                   // 0000000037B4: 807C2EFF 00000C00
	buffer_load_dword v33, s[4:7], 0 offen lds                 // 0000000037BC: E0511000 80010021
	v_mfma_f32_16x16x16_bf16 v[56:59], a[130:131], a[26:27], v[56:59]// 0000000037C4: D3E10038 1CE23582
	s_add_u32 m0, 0xd00, s46                                   // 0000000037CC: 807C2EFF 00000D00
	buffer_load_dword v34, s[4:7], 0 offen lds                 // 0000000037D4: E0511000 80010022
	ds_read_b128 a[112:115], v37 offset:19584                  // 0000000037DC: DBFE4C80 70000025
	ds_read_b128 a[116:119], v37 offset:19648                  // 0000000037E4: DBFE4CC0 74000025
	v_mfma_f32_16x16x16_bf16 v[56:59], a[132:133], a[28:29], v[56:59]// 0000000037EC: D3E10038 1CE23984
	s_add_u32 m0, 0xe00, s46                                   // 0000000037F4: 807C2EFF 00000E00
	buffer_load_dword v35, s[4:7], 0 offen lds                 // 0000000037FC: E0511000 80010023
	v_mfma_f32_16x16x16_bf16 v[56:59], a[134:135], a[30:31], v[56:59]// 000000003804: D3E10038 1CE23D86
	s_add_u32 m0, 0xf00, s46                                   // 00000000380C: 807C2EFF 00000F00
	buffer_load_dword v36, s[4:7], 0 offen lds                 // 000000003814: E0511000 80010024
	ds_read_b128 a[120:123], v37 offset:20096                  // 00000000381C: DBFE4E80 78000025
	ds_read_b128 a[124:127], v37 offset:20160                  // 000000003824: DBFE4EC0 7C000025
	v_mfma_f32_16x16x16_bf16 v[60:63], a[128:129], a[32:33], v[60:63]// 00000000382C: D3E1003C 1CF24180
	s_add_u32 s31, 0x100, s33                                  // 000000003834: 801F21FF 00000100
	s_cmp_lt_u32 s31, s34                                      // 00000000383C: BF0A221F
	s_cselect_b32 s44, s44, 0                                  // 000000003840: 852C802C
	buffer_load_dwordx4 a[144:147], v38, s[8:11], 0 offen      // 000000003844: E05C1000 80829026
	v_mfma_f32_16x16x16_bf16 v[60:63], a[130:131], a[34:35], v[60:63]// 00000000384C: D3E1003C 1CF24582
	buffer_load_dwordx4 a[148:151], v39, s[8:11], 0 offen      // 000000003854: E05C1000 80829427
	s_add_u32 s4, s44, s4                                      // 00000000385C: 8004042C
	s_addc_u32 s5, 0, s5                                       // 000000003860: 82050580
	v_mfma_f32_16x16x16_bf16 v[60:63], a[132:133], a[36:37], v[60:63]// 000000003864: D3E1003C 1CF24984
	s_add_u32 s31, 0xc0, s33                                   // 00000000386C: 801F21FF 000000C0
	s_cmp_lt_u32 s31, s34                                      // 000000003874: BF0A221F
	s_cselect_b32 s45, s45, 0                                  // 000000003878: 852D802D
	v_mfma_f32_16x16x16_bf16 v[60:63], a[134:135], a[38:39], v[60:63]// 00000000387C: D3E1003C 1CF24D86
	s_add_u32 s8, s45, s8                                      // 000000003884: 8008082D
	s_addc_u32 s9, 0, s9                                       // 000000003888: 82090980
	v_mfma_f32_16x16x16_bf16 v[64:67], a[128:129], a[40:41], v[64:67]// 00000000388C: D3E10040 1D025180
	v_mfma_f32_16x16x16_bf16 v[64:67], a[130:131], a[42:43], v[64:67]// 000000003894: D3E10040 1D025582
	v_mfma_f32_16x16x16_bf16 v[64:67], a[132:133], a[44:45], v[64:67]// 00000000389C: D3E10040 1D025984
	v_mfma_f32_16x16x16_bf16 v[64:67], a[134:135], a[46:47], v[64:67]// 0000000038A4: D3E10040 1D025D86
	v_mfma_f32_16x16x16_bf16 v[68:71], a[128:129], a[48:49], v[68:71]// 0000000038AC: D3E10044 1D126180
	v_mfma_f32_16x16x16_bf16 v[68:71], a[130:131], a[50:51], v[68:71]// 0000000038B4: D3E10044 1D126582
	v_mfma_f32_16x16x16_bf16 v[68:71], a[132:133], a[52:53], v[68:71]// 0000000038BC: D3E10044 1D126984
	v_mfma_f32_16x16x16_bf16 v[68:71], a[134:135], a[54:55], v[68:71]// 0000000038C4: D3E10044 1D126D86
	v_mfma_f32_16x16x16_bf16 v[72:75], a[128:129], a[56:57], v[72:75]// 0000000038CC: D3E10048 1D227180
	v_mfma_f32_16x16x16_bf16 v[72:75], a[130:131], a[58:59], v[72:75]// 0000000038D4: D3E10048 1D227582
	v_mfma_f32_16x16x16_bf16 v[72:75], a[132:133], a[60:61], v[72:75]// 0000000038DC: D3E10048 1D227984
	v_mfma_f32_16x16x16_bf16 v[72:75], a[134:135], a[62:63], v[72:75]// 0000000038E4: D3E10048 1D227D86
	s_addk_i32 s33, 0x40                                       // 0000000038EC: B7210040
	s_cmp_lt_i32 s33, s34                                      // 0000000038F0: BF042221
	s_cbranch_scc0 label_0B7C                                  // 0000000038F4: BF8407BE
	s_waitcnt vmcnt(18) lgkmcnt(0)                             // 0000000038F8: BF8C4072
	s_barrier                                                  // 0000000038FC: BF8A0000
	v_mfma_f32_16x16x16_bf16 v[44:47], a[136:137], a[64:65], v[44:47]// 000000003900: D3E1002C 1CB28188
	s_add_u32 m0, 0, s47                                       // 000000003908: 807C2F80
	buffer_load_dword v21, s[4:7], 0 offen lds                 // 00000000390C: E0511000 80010015
	v_mfma_f32_16x16x16_bf16 v[44:47], a[138:139], a[66:67], v[44:47]// 000000003914: D3E1002C 1CB2858A
	s_add_u32 m0, 0x100, s47                                   // 00000000391C: 807C2FFF 00000100
	buffer_load_dword v22, s[4:7], 0 offen lds                 // 000000003924: E0511000 80010016
	ds_read_b128 a[0:3], v37 offset:33024                      // 00000000392C: DBFE8100 00000025
	ds_read_b128 a[4:7], v37 offset:33088                      // 000000003934: DBFE8140 04000025
	v_mfma_f32_16x16x16_bf16 v[44:47], a[140:141], a[68:69], v[44:47]// 00000000393C: D3E1002C 1CB2898C
	s_add_u32 m0, 0x200, s47                                   // 000000003944: 807C2FFF 00000200
	buffer_load_dword v23, s[4:7], 0 offen lds                 // 00000000394C: E0511000 80010017
	v_mfma_f32_16x16x16_bf16 v[44:47], a[142:143], a[70:71], v[44:47]// 000000003954: D3E1002C 1CB28D8E
	s_add_u32 m0, 0x300, s47                                   // 00000000395C: 807C2FFF 00000300
	buffer_load_dword v24, s[4:7], 0 offen lds                 // 000000003964: E0511000 80010018
	ds_read_b128 a[8:11], v37 offset:33536                     // 00000000396C: DBFE8300 08000025
	ds_read_b128 a[12:15], v37 offset:33600                    // 000000003974: DBFE8340 0C000025
	v_mfma_f32_16x16x16_bf16 v[48:51], a[136:137], a[72:73], v[48:51]// 00000000397C: D3E10030 1CC29188
	s_add_u32 m0, 0x400, s47                                   // 000000003984: 807C2FFF 00000400
	buffer_load_dword v25, s[4:7], 0 offen lds                 // 00000000398C: E0511000 80010019
	v_mfma_f32_16x16x16_bf16 v[48:51], a[138:139], a[74:75], v[48:51]// 000000003994: D3E10030 1CC2958A
	s_add_u32 m0, 0x500, s47                                   // 00000000399C: 807C2FFF 00000500
	buffer_load_dword v26, s[4:7], 0 offen lds                 // 0000000039A4: E0511000 8001001A
	ds_read_b128 a[16:19], v37 offset:34048                    // 0000000039AC: DBFE8500 10000025
	ds_read_b128 a[20:23], v37 offset:34112                    // 0000000039B4: DBFE8540 14000025
	v_mfma_f32_16x16x16_bf16 v[48:51], a[140:141], a[76:77], v[48:51]// 0000000039BC: D3E10030 1CC2998C
	s_add_u32 m0, 0x600, s47                                   // 0000000039C4: 807C2FFF 00000600
	buffer_load_dword v27, s[4:7], 0 offen lds                 // 0000000039CC: E0511000 8001001B
	v_mfma_f32_16x16x16_bf16 v[48:51], a[142:143], a[78:79], v[48:51]// 0000000039D4: D3E10030 1CC29D8E
	s_add_u32 m0, 0x700, s47                                   // 0000000039DC: 807C2FFF 00000700
	buffer_load_dword v28, s[4:7], 0 offen lds                 // 0000000039E4: E0511000 8001001C
	ds_read_b128 a[24:27], v37 offset:34560                    // 0000000039EC: DBFE8700 18000025
	ds_read_b128 a[28:31], v37 offset:34624                    // 0000000039F4: DBFE8740 1C000025
	v_mfma_f32_16x16x16_bf16 v[52:55], a[136:137], a[80:81], v[52:55]// 0000000039FC: D3E10034 1CD2A188
	s_add_u32 m0, 0x800, s47                                   // 000000003A04: 807C2FFF 00000800
	buffer_load_dword v29, s[4:7], 0 offen lds                 // 000000003A0C: E0511000 8001001D
	v_mfma_f32_16x16x16_bf16 v[52:55], a[138:139], a[82:83], v[52:55]// 000000003A14: D3E10034 1CD2A58A
	s_add_u32 m0, 0x900, s47                                   // 000000003A1C: 807C2FFF 00000900
	buffer_load_dword v30, s[4:7], 0 offen lds                 // 000000003A24: E0511000 8001001E
	ds_read_b128 a[32:35], v37 offset:35072                    // 000000003A2C: DBFE8900 20000025
	ds_read_b128 a[36:39], v37 offset:35136                    // 000000003A34: DBFE8940 24000025
	v_mfma_f32_16x16x16_bf16 v[52:55], a[140:141], a[84:85], v[52:55]// 000000003A3C: D3E10034 1CD2A98C
	s_add_u32 m0, 0xa00, s47                                   // 000000003A44: 807C2FFF 00000A00
	buffer_load_dword v31, s[4:7], 0 offen lds                 // 000000003A4C: E0511000 8001001F
	v_mfma_f32_16x16x16_bf16 v[52:55], a[142:143], a[86:87], v[52:55]// 000000003A54: D3E10034 1CD2AD8E
	s_add_u32 m0, 0xb00, s47                                   // 000000003A5C: 807C2FFF 00000B00
	buffer_load_dword v32, s[4:7], 0 offen lds                 // 000000003A64: E0511000 80010020
	ds_read_b128 a[40:43], v37 offset:35584                    // 000000003A6C: DBFE8B00 28000025
	ds_read_b128 a[44:47], v37 offset:35648                    // 000000003A74: DBFE8B40 2C000025
	v_mfma_f32_16x16x16_bf16 v[56:59], a[136:137], a[88:89], v[56:59]// 000000003A7C: D3E10038 1CE2B188
	s_add_u32 m0, 0xc00, s47                                   // 000000003A84: 807C2FFF 00000C00
	buffer_load_dword v33, s[4:7], 0 offen lds                 // 000000003A8C: E0511000 80010021
	v_mfma_f32_16x16x16_bf16 v[56:59], a[138:139], a[90:91], v[56:59]// 000000003A94: D3E10038 1CE2B58A
	s_add_u32 m0, 0xd00, s47                                   // 000000003A9C: 807C2FFF 00000D00
	buffer_load_dword v34, s[4:7], 0 offen lds                 // 000000003AA4: E0511000 80010022
	ds_read_b128 a[48:51], v37 offset:36096                    // 000000003AAC: DBFE8D00 30000025
	ds_read_b128 a[52:55], v37 offset:36160                    // 000000003AB4: DBFE8D40 34000025
	v_mfma_f32_16x16x16_bf16 v[56:59], a[140:141], a[92:93], v[56:59]// 000000003ABC: D3E10038 1CE2B98C
	s_add_u32 m0, 0xe00, s47                                   // 000000003AC4: 807C2FFF 00000E00
	buffer_load_dword v35, s[4:7], 0 offen lds                 // 000000003ACC: E0511000 80010023
	v_mfma_f32_16x16x16_bf16 v[56:59], a[142:143], a[94:95], v[56:59]// 000000003AD4: D3E10038 1CE2BD8E
	s_add_u32 m0, 0xf00, s47                                   // 000000003ADC: 807C2FFF 00000F00
	buffer_load_dword v36, s[4:7], 0 offen lds                 // 000000003AE4: E0511000 80010024
	ds_read_b128 a[56:59], v37 offset:36608                    // 000000003AEC: DBFE8F00 38000025
	ds_read_b128 a[60:63], v37 offset:36672                    // 000000003AF4: DBFE8F40 3C000025
	v_mfma_f32_16x16x16_bf16 v[60:63], a[136:137], a[96:97], v[60:63]// 000000003AFC: D3E1003C 1CF2C188
	s_add_u32 s31, 0x100, s33                                  // 000000003B04: 801F21FF 00000100
	s_cmp_lt_u32 s31, s34                                      // 000000003B0C: BF0A221F
	s_cselect_b32 s44, s44, 0                                  // 000000003B10: 852C802C
	buffer_load_dwordx4 a[128:131], v38, s[8:11], 0 offen      // 000000003B14: E05C1000 80828026
	v_mfma_f32_16x16x16_bf16 v[60:63], a[138:139], a[98:99], v[60:63]// 000000003B1C: D3E1003C 1CF2C58A
	buffer_load_dwordx4 a[132:135], v39, s[8:11], 0 offen      // 000000003B24: E05C1000 80828427
	s_add_u32 s4, s44, s4                                      // 000000003B2C: 8004042C
	s_addc_u32 s5, 0, s5                                       // 000000003B30: 82050580
	v_mfma_f32_16x16x16_bf16 v[60:63], a[140:141], a[100:101], v[60:63]// 000000003B34: D3E1003C 1CF2C98C
	s_add_u32 s31, 0xc0, s33                                   // 000000003B3C: 801F21FF 000000C0
	s_cmp_lt_u32 s31, s34                                      // 000000003B44: BF0A221F
	s_cselect_b32 s45, s45, 0                                  // 000000003B48: 852D802D
	v_mfma_f32_16x16x16_bf16 v[60:63], a[142:143], a[102:103], v[60:63]// 000000003B4C: D3E1003C 1CF2CD8E
	s_add_u32 s8, s45, s8                                      // 000000003B54: 8008082D
	s_addc_u32 s9, 0, s9                                       // 000000003B58: 82090980
	v_mfma_f32_16x16x16_bf16 v[64:67], a[136:137], a[104:105], v[64:67]// 000000003B5C: D3E10040 1D02D188
	v_mfma_f32_16x16x16_bf16 v[64:67], a[138:139], a[106:107], v[64:67]// 000000003B64: D3E10040 1D02D58A
	v_mfma_f32_16x16x16_bf16 v[64:67], a[140:141], a[108:109], v[64:67]// 000000003B6C: D3E10040 1D02D98C
	v_mfma_f32_16x16x16_bf16 v[64:67], a[142:143], a[110:111], v[64:67]// 000000003B74: D3E10040 1D02DD8E
	v_mfma_f32_16x16x16_bf16 v[68:71], a[136:137], a[112:113], v[68:71]// 000000003B7C: D3E10044 1D12E188
	v_mfma_f32_16x16x16_bf16 v[68:71], a[138:139], a[114:115], v[68:71]// 000000003B84: D3E10044 1D12E58A
	v_mfma_f32_16x16x16_bf16 v[68:71], a[140:141], a[116:117], v[68:71]// 000000003B8C: D3E10044 1D12E98C
	v_mfma_f32_16x16x16_bf16 v[68:71], a[142:143], a[118:119], v[68:71]// 000000003B94: D3E10044 1D12ED8E
	v_mfma_f32_16x16x16_bf16 v[72:75], a[136:137], a[120:121], v[72:75]// 000000003B9C: D3E10048 1D22F188
	v_mfma_f32_16x16x16_bf16 v[72:75], a[138:139], a[122:123], v[72:75]// 000000003BA4: D3E10048 1D22F58A
	v_mfma_f32_16x16x16_bf16 v[72:75], a[140:141], a[124:125], v[72:75]// 000000003BAC: D3E10048 1D22F98C
	v_mfma_f32_16x16x16_bf16 v[72:75], a[142:143], a[126:127], v[72:75]// 000000003BB4: D3E10048 1D22FD8E
	s_addk_i32 s33, 0x40                                       // 000000003BBC: B7210040
	s_cmp_lt_i32 s33, s34                                      // 000000003BC0: BF042221
	s_cbranch_scc0 label_0B7C                                  // 000000003BC4: BF84070A
	s_waitcnt vmcnt(18) lgkmcnt(0)                             // 000000003BC8: BF8C4072
	s_barrier                                                  // 000000003BCC: BF8A0000
	v_mfma_f32_16x16x16_bf16 v[44:47], a[144:145], a[0:1], v[44:47]// 000000003BD0: D3E1002C 1CB20190
	s_add_u32 m0, 0, s48                                       // 000000003BD8: 807C3080
	buffer_load_dword v21, s[4:7], 0 offen lds                 // 000000003BDC: E0511000 80010015
	v_mfma_f32_16x16x16_bf16 v[44:47], a[146:147], a[2:3], v[44:47]// 000000003BE4: D3E1002C 1CB20592
	s_add_u32 m0, 0x100, s48                                   // 000000003BEC: 807C30FF 00000100
	buffer_load_dword v22, s[4:7], 0 offen lds                 // 000000003BF4: E0511000 80010016
	ds_read_b128 a[64:67], v37                                 // 000000003BFC: DBFE0000 40000025
	ds_read_b128 a[68:71], v37 offset:64                       // 000000003C04: DBFE0040 44000025
	v_mfma_f32_16x16x16_bf16 v[44:47], a[148:149], a[4:5], v[44:47]// 000000003C0C: D3E1002C 1CB20994
	s_add_u32 m0, 0x200, s48                                   // 000000003C14: 807C30FF 00000200
	buffer_load_dword v23, s[4:7], 0 offen lds                 // 000000003C1C: E0511000 80010017
	v_mfma_f32_16x16x16_bf16 v[44:47], a[150:151], a[6:7], v[44:47]// 000000003C24: D3E1002C 1CB20D96
	s_add_u32 m0, 0x300, s48                                   // 000000003C2C: 807C30FF 00000300
	buffer_load_dword v24, s[4:7], 0 offen lds                 // 000000003C34: E0511000 80010018
	ds_read_b128 a[72:75], v37 offset:512                      // 000000003C3C: DBFE0200 48000025
	ds_read_b128 a[76:79], v37 offset:576                      // 000000003C44: DBFE0240 4C000025
	v_mfma_f32_16x16x16_bf16 v[48:51], a[144:145], a[8:9], v[48:51]// 000000003C4C: D3E10030 1CC21190
	s_add_u32 m0, 0x400, s48                                   // 000000003C54: 807C30FF 00000400
	buffer_load_dword v25, s[4:7], 0 offen lds                 // 000000003C5C: E0511000 80010019
	v_mfma_f32_16x16x16_bf16 v[48:51], a[146:147], a[10:11], v[48:51]// 000000003C64: D3E10030 1CC21592
	s_add_u32 m0, 0x500, s48                                   // 000000003C6C: 807C30FF 00000500
	buffer_load_dword v26, s[4:7], 0 offen lds                 // 000000003C74: E0511000 8001001A
	ds_read_b128 a[80:83], v37 offset:1024                     // 000000003C7C: DBFE0400 50000025
	ds_read_b128 a[84:87], v37 offset:1088                     // 000000003C84: DBFE0440 54000025
	v_mfma_f32_16x16x16_bf16 v[48:51], a[148:149], a[12:13], v[48:51]// 000000003C8C: D3E10030 1CC21994
	s_add_u32 m0, 0x600, s48                                   // 000000003C94: 807C30FF 00000600
	buffer_load_dword v27, s[4:7], 0 offen lds                 // 000000003C9C: E0511000 8001001B
	v_mfma_f32_16x16x16_bf16 v[48:51], a[150:151], a[14:15], v[48:51]// 000000003CA4: D3E10030 1CC21D96
	s_add_u32 m0, 0x700, s48                                   // 000000003CAC: 807C30FF 00000700
	buffer_load_dword v28, s[4:7], 0 offen lds                 // 000000003CB4: E0511000 8001001C
	ds_read_b128 a[88:91], v37 offset:1536                     // 000000003CBC: DBFE0600 58000025
	ds_read_b128 a[92:95], v37 offset:1600                     // 000000003CC4: DBFE0640 5C000025
	v_mfma_f32_16x16x16_bf16 v[52:55], a[144:145], a[16:17], v[52:55]// 000000003CCC: D3E10034 1CD22190
	s_add_u32 m0, 0x800, s48                                   // 000000003CD4: 807C30FF 00000800
	buffer_load_dword v29, s[4:7], 0 offen lds                 // 000000003CDC: E0511000 8001001D
	v_mfma_f32_16x16x16_bf16 v[52:55], a[146:147], a[18:19], v[52:55]// 000000003CE4: D3E10034 1CD22592
	s_add_u32 m0, 0x900, s48                                   // 000000003CEC: 807C30FF 00000900
	buffer_load_dword v30, s[4:7], 0 offen lds                 // 000000003CF4: E0511000 8001001E
	ds_read_b128 a[96:99], v37 offset:2048                     // 000000003CFC: DBFE0800 60000025
	ds_read_b128 a[100:103], v37 offset:2112                   // 000000003D04: DBFE0840 64000025
	v_mfma_f32_16x16x16_bf16 v[52:55], a[148:149], a[20:21], v[52:55]// 000000003D0C: D3E10034 1CD22994
	s_add_u32 m0, 0xa00, s48                                   // 000000003D14: 807C30FF 00000A00
	buffer_load_dword v31, s[4:7], 0 offen lds                 // 000000003D1C: E0511000 8001001F
	v_mfma_f32_16x16x16_bf16 v[52:55], a[150:151], a[22:23], v[52:55]// 000000003D24: D3E10034 1CD22D96
	s_add_u32 m0, 0xb00, s48                                   // 000000003D2C: 807C30FF 00000B00
	buffer_load_dword v32, s[4:7], 0 offen lds                 // 000000003D34: E0511000 80010020
	ds_read_b128 a[104:107], v37 offset:2560                   // 000000003D3C: DBFE0A00 68000025
	ds_read_b128 a[108:111], v37 offset:2624                   // 000000003D44: DBFE0A40 6C000025
	v_mfma_f32_16x16x16_bf16 v[56:59], a[144:145], a[24:25], v[56:59]// 000000003D4C: D3E10038 1CE23190
	s_add_u32 m0, 0xc00, s48                                   // 000000003D54: 807C30FF 00000C00
	buffer_load_dword v33, s[4:7], 0 offen lds                 // 000000003D5C: E0511000 80010021
	v_mfma_f32_16x16x16_bf16 v[56:59], a[146:147], a[26:27], v[56:59]// 000000003D64: D3E10038 1CE23592
	s_add_u32 m0, 0xd00, s48                                   // 000000003D6C: 807C30FF 00000D00
	buffer_load_dword v34, s[4:7], 0 offen lds                 // 000000003D74: E0511000 80010022
	ds_read_b128 a[112:115], v37 offset:3072                   // 000000003D7C: DBFE0C00 70000025
	ds_read_b128 a[116:119], v37 offset:3136                   // 000000003D84: DBFE0C40 74000025
	v_mfma_f32_16x16x16_bf16 v[56:59], a[148:149], a[28:29], v[56:59]// 000000003D8C: D3E10038 1CE23994
	s_add_u32 m0, 0xe00, s48                                   // 000000003D94: 807C30FF 00000E00
	buffer_load_dword v35, s[4:7], 0 offen lds                 // 000000003D9C: E0511000 80010023
	v_mfma_f32_16x16x16_bf16 v[56:59], a[150:151], a[30:31], v[56:59]// 000000003DA4: D3E10038 1CE23D96
	s_add_u32 m0, 0xf00, s48                                   // 000000003DAC: 807C30FF 00000F00
	buffer_load_dword v36, s[4:7], 0 offen lds                 // 000000003DB4: E0511000 80010024
	ds_read_b128 a[120:123], v37 offset:3584                   // 000000003DBC: DBFE0E00 78000025
	ds_read_b128 a[124:127], v37 offset:3648                   // 000000003DC4: DBFE0E40 7C000025
	v_mfma_f32_16x16x16_bf16 v[60:63], a[144:145], a[32:33], v[60:63]// 000000003DCC: D3E1003C 1CF24190
	s_add_u32 s31, 0x100, s33                                  // 000000003DD4: 801F21FF 00000100
	s_cmp_lt_u32 s31, s34                                      // 000000003DDC: BF0A221F
	s_cselect_b32 s44, s44, 0                                  // 000000003DE0: 852C802C
	buffer_load_dwordx4 a[136:139], v38, s[8:11], 0 offen      // 000000003DE4: E05C1000 80828826
	v_mfma_f32_16x16x16_bf16 v[60:63], a[146:147], a[34:35], v[60:63]// 000000003DEC: D3E1003C 1CF24592
	buffer_load_dwordx4 a[140:143], v39, s[8:11], 0 offen      // 000000003DF4: E05C1000 80828C27
	s_add_u32 s4, s44, s4                                      // 000000003DFC: 8004042C
	s_addc_u32 s5, 0, s5                                       // 000000003E00: 82050580
	v_mfma_f32_16x16x16_bf16 v[60:63], a[148:149], a[36:37], v[60:63]// 000000003E04: D3E1003C 1CF24994
	s_add_u32 s31, 0xc0, s33                                   // 000000003E0C: 801F21FF 000000C0
	s_cmp_lt_u32 s31, s34                                      // 000000003E14: BF0A221F
	s_cselect_b32 s45, s45, 0                                  // 000000003E18: 852D802D
	v_mfma_f32_16x16x16_bf16 v[60:63], a[150:151], a[38:39], v[60:63]// 000000003E1C: D3E1003C 1CF24D96
	s_add_u32 s8, s45, s8                                      // 000000003E24: 8008082D
	s_addc_u32 s9, 0, s9                                       // 000000003E28: 82090980
	v_mfma_f32_16x16x16_bf16 v[64:67], a[144:145], a[40:41], v[64:67]// 000000003E2C: D3E10040 1D025190
	v_mfma_f32_16x16x16_bf16 v[64:67], a[146:147], a[42:43], v[64:67]// 000000003E34: D3E10040 1D025592
	v_mfma_f32_16x16x16_bf16 v[64:67], a[148:149], a[44:45], v[64:67]// 000000003E3C: D3E10040 1D025994
	v_mfma_f32_16x16x16_bf16 v[64:67], a[150:151], a[46:47], v[64:67]// 000000003E44: D3E10040 1D025D96
	v_mfma_f32_16x16x16_bf16 v[68:71], a[144:145], a[48:49], v[68:71]// 000000003E4C: D3E10044 1D126190
	v_mfma_f32_16x16x16_bf16 v[68:71], a[146:147], a[50:51], v[68:71]// 000000003E54: D3E10044 1D126592
	v_mfma_f32_16x16x16_bf16 v[68:71], a[148:149], a[52:53], v[68:71]// 000000003E5C: D3E10044 1D126994
	v_mfma_f32_16x16x16_bf16 v[68:71], a[150:151], a[54:55], v[68:71]// 000000003E64: D3E10044 1D126D96
	v_mfma_f32_16x16x16_bf16 v[72:75], a[144:145], a[56:57], v[72:75]// 000000003E6C: D3E10048 1D227190
	v_mfma_f32_16x16x16_bf16 v[72:75], a[146:147], a[58:59], v[72:75]// 000000003E74: D3E10048 1D227592
	v_mfma_f32_16x16x16_bf16 v[72:75], a[148:149], a[60:61], v[72:75]// 000000003E7C: D3E10048 1D227994
	v_mfma_f32_16x16x16_bf16 v[72:75], a[150:151], a[62:63], v[72:75]// 000000003E84: D3E10048 1D227D96
	s_addk_i32 s33, 0x40                                       // 000000003E8C: B7210040
	s_cmp_lt_i32 s33, s34                                      // 000000003E90: BF042221
	s_cbranch_scc0 label_0B7C                                  // 000000003E94: BF840656
	s_waitcnt vmcnt(18) lgkmcnt(0)                             // 000000003E98: BF8C4072
	s_barrier                                                  // 000000003E9C: BF8A0000
	v_mfma_f32_16x16x16_bf16 v[44:47], a[128:129], a[64:65], v[44:47]// 000000003EA0: D3E1002C 1CB28180
	s_add_u32 m0, 0, s46                                       // 000000003EA8: 807C2E80
	buffer_load_dword v21, s[4:7], 0 offen lds                 // 000000003EAC: E0511000 80010015
	v_mfma_f32_16x16x16_bf16 v[44:47], a[130:131], a[66:67], v[44:47]// 000000003EB4: D3E1002C 1CB28582
	s_add_u32 m0, 0x100, s46                                   // 000000003EBC: 807C2EFF 00000100
	buffer_load_dword v22, s[4:7], 0 offen lds                 // 000000003EC4: E0511000 80010016
	ds_read_b128 a[0:3], v37 offset:16512                      // 000000003ECC: DBFE4080 00000025
	ds_read_b128 a[4:7], v37 offset:16576                      // 000000003ED4: DBFE40C0 04000025
	v_mfma_f32_16x16x16_bf16 v[44:47], a[132:133], a[68:69], v[44:47]// 000000003EDC: D3E1002C 1CB28984
	s_add_u32 m0, 0x200, s46                                   // 000000003EE4: 807C2EFF 00000200
	buffer_load_dword v23, s[4:7], 0 offen lds                 // 000000003EEC: E0511000 80010017
	v_mfma_f32_16x16x16_bf16 v[44:47], a[134:135], a[70:71], v[44:47]// 000000003EF4: D3E1002C 1CB28D86
	s_add_u32 m0, 0x300, s46                                   // 000000003EFC: 807C2EFF 00000300
	buffer_load_dword v24, s[4:7], 0 offen lds                 // 000000003F04: E0511000 80010018
	ds_read_b128 a[8:11], v37 offset:17024                     // 000000003F0C: DBFE4280 08000025
	ds_read_b128 a[12:15], v37 offset:17088                    // 000000003F14: DBFE42C0 0C000025
	v_mfma_f32_16x16x16_bf16 v[48:51], a[128:129], a[72:73], v[48:51]// 000000003F1C: D3E10030 1CC29180
	s_add_u32 m0, 0x400, s46                                   // 000000003F24: 807C2EFF 00000400
	buffer_load_dword v25, s[4:7], 0 offen lds                 // 000000003F2C: E0511000 80010019
	v_mfma_f32_16x16x16_bf16 v[48:51], a[130:131], a[74:75], v[48:51]// 000000003F34: D3E10030 1CC29582
	s_add_u32 m0, 0x500, s46                                   // 000000003F3C: 807C2EFF 00000500
	buffer_load_dword v26, s[4:7], 0 offen lds                 // 000000003F44: E0511000 8001001A
	ds_read_b128 a[16:19], v37 offset:17536                    // 000000003F4C: DBFE4480 10000025
	ds_read_b128 a[20:23], v37 offset:17600                    // 000000003F54: DBFE44C0 14000025
	v_mfma_f32_16x16x16_bf16 v[48:51], a[132:133], a[76:77], v[48:51]// 000000003F5C: D3E10030 1CC29984
	s_add_u32 m0, 0x600, s46                                   // 000000003F64: 807C2EFF 00000600
	buffer_load_dword v27, s[4:7], 0 offen lds                 // 000000003F6C: E0511000 8001001B
	v_mfma_f32_16x16x16_bf16 v[48:51], a[134:135], a[78:79], v[48:51]// 000000003F74: D3E10030 1CC29D86
	s_add_u32 m0, 0x700, s46                                   // 000000003F7C: 807C2EFF 00000700
	buffer_load_dword v28, s[4:7], 0 offen lds                 // 000000003F84: E0511000 8001001C
	ds_read_b128 a[24:27], v37 offset:18048                    // 000000003F8C: DBFE4680 18000025
	ds_read_b128 a[28:31], v37 offset:18112                    // 000000003F94: DBFE46C0 1C000025
	v_mfma_f32_16x16x16_bf16 v[52:55], a[128:129], a[80:81], v[52:55]// 000000003F9C: D3E10034 1CD2A180
	s_add_u32 m0, 0x800, s46                                   // 000000003FA4: 807C2EFF 00000800
	buffer_load_dword v29, s[4:7], 0 offen lds                 // 000000003FAC: E0511000 8001001D
	v_mfma_f32_16x16x16_bf16 v[52:55], a[130:131], a[82:83], v[52:55]// 000000003FB4: D3E10034 1CD2A582
	s_add_u32 m0, 0x900, s46                                   // 000000003FBC: 807C2EFF 00000900
	buffer_load_dword v30, s[4:7], 0 offen lds                 // 000000003FC4: E0511000 8001001E
	ds_read_b128 a[32:35], v37 offset:18560                    // 000000003FCC: DBFE4880 20000025
	ds_read_b128 a[36:39], v37 offset:18624                    // 000000003FD4: DBFE48C0 24000025
	v_mfma_f32_16x16x16_bf16 v[52:55], a[132:133], a[84:85], v[52:55]// 000000003FDC: D3E10034 1CD2A984
	s_add_u32 m0, 0xa00, s46                                   // 000000003FE4: 807C2EFF 00000A00
	buffer_load_dword v31, s[4:7], 0 offen lds                 // 000000003FEC: E0511000 8001001F
	v_mfma_f32_16x16x16_bf16 v[52:55], a[134:135], a[86:87], v[52:55]// 000000003FF4: D3E10034 1CD2AD86
	s_add_u32 m0, 0xb00, s46                                   // 000000003FFC: 807C2EFF 00000B00
	buffer_load_dword v32, s[4:7], 0 offen lds                 // 000000004004: E0511000 80010020
	ds_read_b128 a[40:43], v37 offset:19072                    // 00000000400C: DBFE4A80 28000025
	ds_read_b128 a[44:47], v37 offset:19136                    // 000000004014: DBFE4AC0 2C000025
	v_mfma_f32_16x16x16_bf16 v[56:59], a[128:129], a[88:89], v[56:59]// 00000000401C: D3E10038 1CE2B180
	s_add_u32 m0, 0xc00, s46                                   // 000000004024: 807C2EFF 00000C00
	buffer_load_dword v33, s[4:7], 0 offen lds                 // 00000000402C: E0511000 80010021
	v_mfma_f32_16x16x16_bf16 v[56:59], a[130:131], a[90:91], v[56:59]// 000000004034: D3E10038 1CE2B582
	s_add_u32 m0, 0xd00, s46                                   // 00000000403C: 807C2EFF 00000D00
	buffer_load_dword v34, s[4:7], 0 offen lds                 // 000000004044: E0511000 80010022
	ds_read_b128 a[48:51], v37 offset:19584                    // 00000000404C: DBFE4C80 30000025
	ds_read_b128 a[52:55], v37 offset:19648                    // 000000004054: DBFE4CC0 34000025
	v_mfma_f32_16x16x16_bf16 v[56:59], a[132:133], a[92:93], v[56:59]// 00000000405C: D3E10038 1CE2B984
	s_add_u32 m0, 0xe00, s46                                   // 000000004064: 807C2EFF 00000E00
	buffer_load_dword v35, s[4:7], 0 offen lds                 // 00000000406C: E0511000 80010023
	v_mfma_f32_16x16x16_bf16 v[56:59], a[134:135], a[94:95], v[56:59]// 000000004074: D3E10038 1CE2BD86
	s_add_u32 m0, 0xf00, s46                                   // 00000000407C: 807C2EFF 00000F00
	buffer_load_dword v36, s[4:7], 0 offen lds                 // 000000004084: E0511000 80010024
	ds_read_b128 a[56:59], v37 offset:20096                    // 00000000408C: DBFE4E80 38000025
	ds_read_b128 a[60:63], v37 offset:20160                    // 000000004094: DBFE4EC0 3C000025
	v_mfma_f32_16x16x16_bf16 v[60:63], a[128:129], a[96:97], v[60:63]// 00000000409C: D3E1003C 1CF2C180
	s_add_u32 s31, 0x100, s33                                  // 0000000040A4: 801F21FF 00000100
	s_cmp_lt_u32 s31, s34                                      // 0000000040AC: BF0A221F
	s_cselect_b32 s44, s44, 0                                  // 0000000040B0: 852C802C
	buffer_load_dwordx4 a[144:147], v38, s[8:11], 0 offen      // 0000000040B4: E05C1000 80829026
	v_mfma_f32_16x16x16_bf16 v[60:63], a[130:131], a[98:99], v[60:63]// 0000000040BC: D3E1003C 1CF2C582
	buffer_load_dwordx4 a[148:151], v39, s[8:11], 0 offen      // 0000000040C4: E05C1000 80829427
	s_add_u32 s4, s44, s4                                      // 0000000040CC: 8004042C
	s_addc_u32 s5, 0, s5                                       // 0000000040D0: 82050580
	v_mfma_f32_16x16x16_bf16 v[60:63], a[132:133], a[100:101], v[60:63]// 0000000040D4: D3E1003C 1CF2C984
	s_add_u32 s31, 0xc0, s33                                   // 0000000040DC: 801F21FF 000000C0
	s_cmp_lt_u32 s31, s34                                      // 0000000040E4: BF0A221F
	s_cselect_b32 s45, s45, 0                                  // 0000000040E8: 852D802D
	v_mfma_f32_16x16x16_bf16 v[60:63], a[134:135], a[102:103], v[60:63]// 0000000040EC: D3E1003C 1CF2CD86
	s_add_u32 s8, s45, s8                                      // 0000000040F4: 8008082D
	s_addc_u32 s9, 0, s9                                       // 0000000040F8: 82090980
	v_mfma_f32_16x16x16_bf16 v[64:67], a[128:129], a[104:105], v[64:67]// 0000000040FC: D3E10040 1D02D180
	v_mfma_f32_16x16x16_bf16 v[64:67], a[130:131], a[106:107], v[64:67]// 000000004104: D3E10040 1D02D582
	v_mfma_f32_16x16x16_bf16 v[64:67], a[132:133], a[108:109], v[64:67]// 00000000410C: D3E10040 1D02D984
	v_mfma_f32_16x16x16_bf16 v[64:67], a[134:135], a[110:111], v[64:67]// 000000004114: D3E10040 1D02DD86
	v_mfma_f32_16x16x16_bf16 v[68:71], a[128:129], a[112:113], v[68:71]// 00000000411C: D3E10044 1D12E180
	v_mfma_f32_16x16x16_bf16 v[68:71], a[130:131], a[114:115], v[68:71]// 000000004124: D3E10044 1D12E582
	v_mfma_f32_16x16x16_bf16 v[68:71], a[132:133], a[116:117], v[68:71]// 00000000412C: D3E10044 1D12E984
	v_mfma_f32_16x16x16_bf16 v[68:71], a[134:135], a[118:119], v[68:71]// 000000004134: D3E10044 1D12ED86
	v_mfma_f32_16x16x16_bf16 v[72:75], a[128:129], a[120:121], v[72:75]// 00000000413C: D3E10048 1D22F180
	v_mfma_f32_16x16x16_bf16 v[72:75], a[130:131], a[122:123], v[72:75]// 000000004144: D3E10048 1D22F582
	v_mfma_f32_16x16x16_bf16 v[72:75], a[132:133], a[124:125], v[72:75]// 00000000414C: D3E10048 1D22F984
	v_mfma_f32_16x16x16_bf16 v[72:75], a[134:135], a[126:127], v[72:75]// 000000004154: D3E10048 1D22FD86
	s_addk_i32 s33, 0x40                                       // 00000000415C: B7210040
	s_cmp_lt_i32 s33, s34                                      // 000000004160: BF042221
	s_cbranch_scc0 label_0B7C                                  // 000000004164: BF8405A2
	s_waitcnt vmcnt(18) lgkmcnt(0)                             // 000000004168: BF8C4072
	s_barrier                                                  // 00000000416C: BF8A0000
	v_mfma_f32_16x16x16_bf16 v[44:47], a[136:137], a[0:1], v[44:47]// 000000004170: D3E1002C 1CB20188
	s_add_u32 m0, 0, s47                                       // 000000004178: 807C2F80
	buffer_load_dword v21, s[4:7], 0 offen lds                 // 00000000417C: E0511000 80010015
	v_mfma_f32_16x16x16_bf16 v[44:47], a[138:139], a[2:3], v[44:47]// 000000004184: D3E1002C 1CB2058A
	s_add_u32 m0, 0x100, s47                                   // 00000000418C: 807C2FFF 00000100
	buffer_load_dword v22, s[4:7], 0 offen lds                 // 000000004194: E0511000 80010016
	ds_read_b128 a[64:67], v37 offset:33024                    // 00000000419C: DBFE8100 40000025
	ds_read_b128 a[68:71], v37 offset:33088                    // 0000000041A4: DBFE8140 44000025
	v_mfma_f32_16x16x16_bf16 v[44:47], a[140:141], a[4:5], v[44:47]// 0000000041AC: D3E1002C 1CB2098C
	s_add_u32 m0, 0x200, s47                                   // 0000000041B4: 807C2FFF 00000200
	buffer_load_dword v23, s[4:7], 0 offen lds                 // 0000000041BC: E0511000 80010017
	v_mfma_f32_16x16x16_bf16 v[44:47], a[142:143], a[6:7], v[44:47]// 0000000041C4: D3E1002C 1CB20D8E
	s_add_u32 m0, 0x300, s47                                   // 0000000041CC: 807C2FFF 00000300
	buffer_load_dword v24, s[4:7], 0 offen lds                 // 0000000041D4: E0511000 80010018
	ds_read_b128 a[72:75], v37 offset:33536                    // 0000000041DC: DBFE8300 48000025
	ds_read_b128 a[76:79], v37 offset:33600                    // 0000000041E4: DBFE8340 4C000025
	v_mfma_f32_16x16x16_bf16 v[48:51], a[136:137], a[8:9], v[48:51]// 0000000041EC: D3E10030 1CC21188
	s_add_u32 m0, 0x400, s47                                   // 0000000041F4: 807C2FFF 00000400
	buffer_load_dword v25, s[4:7], 0 offen lds                 // 0000000041FC: E0511000 80010019
	v_mfma_f32_16x16x16_bf16 v[48:51], a[138:139], a[10:11], v[48:51]// 000000004204: D3E10030 1CC2158A
	s_add_u32 m0, 0x500, s47                                   // 00000000420C: 807C2FFF 00000500
	buffer_load_dword v26, s[4:7], 0 offen lds                 // 000000004214: E0511000 8001001A
	ds_read_b128 a[80:83], v37 offset:34048                    // 00000000421C: DBFE8500 50000025
	ds_read_b128 a[84:87], v37 offset:34112                    // 000000004224: DBFE8540 54000025
	v_mfma_f32_16x16x16_bf16 v[48:51], a[140:141], a[12:13], v[48:51]// 00000000422C: D3E10030 1CC2198C
	s_add_u32 m0, 0x600, s47                                   // 000000004234: 807C2FFF 00000600
	buffer_load_dword v27, s[4:7], 0 offen lds                 // 00000000423C: E0511000 8001001B
	v_mfma_f32_16x16x16_bf16 v[48:51], a[142:143], a[14:15], v[48:51]// 000000004244: D3E10030 1CC21D8E
	s_add_u32 m0, 0x700, s47                                   // 00000000424C: 807C2FFF 00000700
	buffer_load_dword v28, s[4:7], 0 offen lds                 // 000000004254: E0511000 8001001C
	ds_read_b128 a[88:91], v37 offset:34560                    // 00000000425C: DBFE8700 58000025
	ds_read_b128 a[92:95], v37 offset:34624                    // 000000004264: DBFE8740 5C000025
	v_mfma_f32_16x16x16_bf16 v[52:55], a[136:137], a[16:17], v[52:55]// 00000000426C: D3E10034 1CD22188
	s_add_u32 m0, 0x800, s47                                   // 000000004274: 807C2FFF 00000800
	buffer_load_dword v29, s[4:7], 0 offen lds                 // 00000000427C: E0511000 8001001D
	v_mfma_f32_16x16x16_bf16 v[52:55], a[138:139], a[18:19], v[52:55]// 000000004284: D3E10034 1CD2258A
	s_add_u32 m0, 0x900, s47                                   // 00000000428C: 807C2FFF 00000900
	buffer_load_dword v30, s[4:7], 0 offen lds                 // 000000004294: E0511000 8001001E
	ds_read_b128 a[96:99], v37 offset:35072                    // 00000000429C: DBFE8900 60000025
	ds_read_b128 a[100:103], v37 offset:35136                  // 0000000042A4: DBFE8940 64000025
	v_mfma_f32_16x16x16_bf16 v[52:55], a[140:141], a[20:21], v[52:55]// 0000000042AC: D3E10034 1CD2298C
	s_add_u32 m0, 0xa00, s47                                   // 0000000042B4: 807C2FFF 00000A00
	buffer_load_dword v31, s[4:7], 0 offen lds                 // 0000000042BC: E0511000 8001001F
	v_mfma_f32_16x16x16_bf16 v[52:55], a[142:143], a[22:23], v[52:55]// 0000000042C4: D3E10034 1CD22D8E
	s_add_u32 m0, 0xb00, s47                                   // 0000000042CC: 807C2FFF 00000B00
	buffer_load_dword v32, s[4:7], 0 offen lds                 // 0000000042D4: E0511000 80010020
	ds_read_b128 a[104:107], v37 offset:35584                  // 0000000042DC: DBFE8B00 68000025
	ds_read_b128 a[108:111], v37 offset:35648                  // 0000000042E4: DBFE8B40 6C000025
	v_mfma_f32_16x16x16_bf16 v[56:59], a[136:137], a[24:25], v[56:59]// 0000000042EC: D3E10038 1CE23188
	s_add_u32 m0, 0xc00, s47                                   // 0000000042F4: 807C2FFF 00000C00
	buffer_load_dword v33, s[4:7], 0 offen lds                 // 0000000042FC: E0511000 80010021
	v_mfma_f32_16x16x16_bf16 v[56:59], a[138:139], a[26:27], v[56:59]// 000000004304: D3E10038 1CE2358A
	s_add_u32 m0, 0xd00, s47                                   // 00000000430C: 807C2FFF 00000D00
	buffer_load_dword v34, s[4:7], 0 offen lds                 // 000000004314: E0511000 80010022
	ds_read_b128 a[112:115], v37 offset:36096                  // 00000000431C: DBFE8D00 70000025
	ds_read_b128 a[116:119], v37 offset:36160                  // 000000004324: DBFE8D40 74000025
	v_mfma_f32_16x16x16_bf16 v[56:59], a[140:141], a[28:29], v[56:59]// 00000000432C: D3E10038 1CE2398C
	s_add_u32 m0, 0xe00, s47                                   // 000000004334: 807C2FFF 00000E00
	buffer_load_dword v35, s[4:7], 0 offen lds                 // 00000000433C: E0511000 80010023
	v_mfma_f32_16x16x16_bf16 v[56:59], a[142:143], a[30:31], v[56:59]// 000000004344: D3E10038 1CE23D8E
	s_add_u32 m0, 0xf00, s47                                   // 00000000434C: 807C2FFF 00000F00
	buffer_load_dword v36, s[4:7], 0 offen lds                 // 000000004354: E0511000 80010024
	ds_read_b128 a[120:123], v37 offset:36608                  // 00000000435C: DBFE8F00 78000025
	ds_read_b128 a[124:127], v37 offset:36672                  // 000000004364: DBFE8F40 7C000025
	v_mfma_f32_16x16x16_bf16 v[60:63], a[136:137], a[32:33], v[60:63]// 00000000436C: D3E1003C 1CF24188
	s_add_u32 s31, 0x100, s33                                  // 000000004374: 801F21FF 00000100
	s_cmp_lt_u32 s31, s34                                      // 00000000437C: BF0A221F
	s_cselect_b32 s44, s44, 0                                  // 000000004380: 852C802C
	buffer_load_dwordx4 a[128:131], v38, s[8:11], 0 offen      // 000000004384: E05C1000 80828026
	v_mfma_f32_16x16x16_bf16 v[60:63], a[138:139], a[34:35], v[60:63]// 00000000438C: D3E1003C 1CF2458A
	buffer_load_dwordx4 a[132:135], v39, s[8:11], 0 offen      // 000000004394: E05C1000 80828427
	s_add_u32 s4, s44, s4                                      // 00000000439C: 8004042C
	s_addc_u32 s5, 0, s5                                       // 0000000043A0: 82050580
	v_mfma_f32_16x16x16_bf16 v[60:63], a[140:141], a[36:37], v[60:63]// 0000000043A4: D3E1003C 1CF2498C
	s_add_u32 s31, 0xc0, s33                                   // 0000000043AC: 801F21FF 000000C0
	s_cmp_lt_u32 s31, s34                                      // 0000000043B4: BF0A221F
	s_cselect_b32 s45, s45, 0                                  // 0000000043B8: 852D802D
	v_mfma_f32_16x16x16_bf16 v[60:63], a[142:143], a[38:39], v[60:63]// 0000000043BC: D3E1003C 1CF24D8E
	s_add_u32 s8, s45, s8                                      // 0000000043C4: 8008082D
	s_addc_u32 s9, 0, s9                                       // 0000000043C8: 82090980
	v_mfma_f32_16x16x16_bf16 v[64:67], a[136:137], a[40:41], v[64:67]// 0000000043CC: D3E10040 1D025188
	v_mfma_f32_16x16x16_bf16 v[64:67], a[138:139], a[42:43], v[64:67]// 0000000043D4: D3E10040 1D02558A
	v_mfma_f32_16x16x16_bf16 v[64:67], a[140:141], a[44:45], v[64:67]// 0000000043DC: D3E10040 1D02598C
	v_mfma_f32_16x16x16_bf16 v[64:67], a[142:143], a[46:47], v[64:67]// 0000000043E4: D3E10040 1D025D8E
	v_mfma_f32_16x16x16_bf16 v[68:71], a[136:137], a[48:49], v[68:71]// 0000000043EC: D3E10044 1D126188
	v_mfma_f32_16x16x16_bf16 v[68:71], a[138:139], a[50:51], v[68:71]// 0000000043F4: D3E10044 1D12658A
	v_mfma_f32_16x16x16_bf16 v[68:71], a[140:141], a[52:53], v[68:71]// 0000000043FC: D3E10044 1D12698C
	v_mfma_f32_16x16x16_bf16 v[68:71], a[142:143], a[54:55], v[68:71]// 000000004404: D3E10044 1D126D8E
	v_mfma_f32_16x16x16_bf16 v[72:75], a[136:137], a[56:57], v[72:75]// 00000000440C: D3E10048 1D227188
	v_mfma_f32_16x16x16_bf16 v[72:75], a[138:139], a[58:59], v[72:75]// 000000004414: D3E10048 1D22758A
	v_mfma_f32_16x16x16_bf16 v[72:75], a[140:141], a[60:61], v[72:75]// 00000000441C: D3E10048 1D22798C
	v_mfma_f32_16x16x16_bf16 v[72:75], a[142:143], a[62:63], v[72:75]// 000000004424: D3E10048 1D227D8E
	s_addk_i32 s33, 0x40                                       // 00000000442C: B7210040
	s_cmp_lt_i32 s33, s34                                      // 000000004430: BF042221
	s_cbranch_scc0 label_0B7C                                  // 000000004434: BF8404EE
	s_waitcnt vmcnt(18) lgkmcnt(0)                             // 000000004438: BF8C4072
	s_barrier                                                  // 00000000443C: BF8A0000
	v_mfma_f32_16x16x16_bf16 v[44:47], a[144:145], a[64:65], v[44:47]// 000000004440: D3E1002C 1CB28190
	s_add_u32 m0, 0, s48                                       // 000000004448: 807C3080
	buffer_load_dword v21, s[4:7], 0 offen lds                 // 00000000444C: E0511000 80010015
	v_mfma_f32_16x16x16_bf16 v[44:47], a[146:147], a[66:67], v[44:47]// 000000004454: D3E1002C 1CB28592
	s_add_u32 m0, 0x100, s48                                   // 00000000445C: 807C30FF 00000100
	buffer_load_dword v22, s[4:7], 0 offen lds                 // 000000004464: E0511000 80010016
	ds_read_b128 a[0:3], v37                                   // 00000000446C: DBFE0000 00000025
	ds_read_b128 a[4:7], v37 offset:64                         // 000000004474: DBFE0040 04000025
	v_mfma_f32_16x16x16_bf16 v[44:47], a[148:149], a[68:69], v[44:47]// 00000000447C: D3E1002C 1CB28994
	s_add_u32 m0, 0x200, s48                                   // 000000004484: 807C30FF 00000200
	buffer_load_dword v23, s[4:7], 0 offen lds                 // 00000000448C: E0511000 80010017
	v_mfma_f32_16x16x16_bf16 v[44:47], a[150:151], a[70:71], v[44:47]// 000000004494: D3E1002C 1CB28D96
	s_add_u32 m0, 0x300, s48                                   // 00000000449C: 807C30FF 00000300
	buffer_load_dword v24, s[4:7], 0 offen lds                 // 0000000044A4: E0511000 80010018
	ds_read_b128 a[8:11], v37 offset:512                       // 0000000044AC: DBFE0200 08000025
	ds_read_b128 a[12:15], v37 offset:576                      // 0000000044B4: DBFE0240 0C000025
	v_mfma_f32_16x16x16_bf16 v[48:51], a[144:145], a[72:73], v[48:51]// 0000000044BC: D3E10030 1CC29190
	s_add_u32 m0, 0x400, s48                                   // 0000000044C4: 807C30FF 00000400
	buffer_load_dword v25, s[4:7], 0 offen lds                 // 0000000044CC: E0511000 80010019
	v_mfma_f32_16x16x16_bf16 v[48:51], a[146:147], a[74:75], v[48:51]// 0000000044D4: D3E10030 1CC29592
	s_add_u32 m0, 0x500, s48                                   // 0000000044DC: 807C30FF 00000500
	buffer_load_dword v26, s[4:7], 0 offen lds                 // 0000000044E4: E0511000 8001001A
	ds_read_b128 a[16:19], v37 offset:1024                     // 0000000044EC: DBFE0400 10000025
	ds_read_b128 a[20:23], v37 offset:1088                     // 0000000044F4: DBFE0440 14000025
	v_mfma_f32_16x16x16_bf16 v[48:51], a[148:149], a[76:77], v[48:51]// 0000000044FC: D3E10030 1CC29994
	s_add_u32 m0, 0x600, s48                                   // 000000004504: 807C30FF 00000600
	buffer_load_dword v27, s[4:7], 0 offen lds                 // 00000000450C: E0511000 8001001B
	v_mfma_f32_16x16x16_bf16 v[48:51], a[150:151], a[78:79], v[48:51]// 000000004514: D3E10030 1CC29D96
	s_add_u32 m0, 0x700, s48                                   // 00000000451C: 807C30FF 00000700
	buffer_load_dword v28, s[4:7], 0 offen lds                 // 000000004524: E0511000 8001001C
	ds_read_b128 a[24:27], v37 offset:1536                     // 00000000452C: DBFE0600 18000025
	ds_read_b128 a[28:31], v37 offset:1600                     // 000000004534: DBFE0640 1C000025
	v_mfma_f32_16x16x16_bf16 v[52:55], a[144:145], a[80:81], v[52:55]// 00000000453C: D3E10034 1CD2A190
	s_add_u32 m0, 0x800, s48                                   // 000000004544: 807C30FF 00000800
	buffer_load_dword v29, s[4:7], 0 offen lds                 // 00000000454C: E0511000 8001001D
	v_mfma_f32_16x16x16_bf16 v[52:55], a[146:147], a[82:83], v[52:55]// 000000004554: D3E10034 1CD2A592
	s_add_u32 m0, 0x900, s48                                   // 00000000455C: 807C30FF 00000900
	buffer_load_dword v30, s[4:7], 0 offen lds                 // 000000004564: E0511000 8001001E
	ds_read_b128 a[32:35], v37 offset:2048                     // 00000000456C: DBFE0800 20000025
	ds_read_b128 a[36:39], v37 offset:2112                     // 000000004574: DBFE0840 24000025
	v_mfma_f32_16x16x16_bf16 v[52:55], a[148:149], a[84:85], v[52:55]// 00000000457C: D3E10034 1CD2A994
	s_add_u32 m0, 0xa00, s48                                   // 000000004584: 807C30FF 00000A00
	buffer_load_dword v31, s[4:7], 0 offen lds                 // 00000000458C: E0511000 8001001F
	v_mfma_f32_16x16x16_bf16 v[52:55], a[150:151], a[86:87], v[52:55]// 000000004594: D3E10034 1CD2AD96
	s_add_u32 m0, 0xb00, s48                                   // 00000000459C: 807C30FF 00000B00
	buffer_load_dword v32, s[4:7], 0 offen lds                 // 0000000045A4: E0511000 80010020
	ds_read_b128 a[40:43], v37 offset:2560                     // 0000000045AC: DBFE0A00 28000025
	ds_read_b128 a[44:47], v37 offset:2624                     // 0000000045B4: DBFE0A40 2C000025
	v_mfma_f32_16x16x16_bf16 v[56:59], a[144:145], a[88:89], v[56:59]// 0000000045BC: D3E10038 1CE2B190
	s_add_u32 m0, 0xc00, s48                                   // 0000000045C4: 807C30FF 00000C00
	buffer_load_dword v33, s[4:7], 0 offen lds                 // 0000000045CC: E0511000 80010021
	v_mfma_f32_16x16x16_bf16 v[56:59], a[146:147], a[90:91], v[56:59]// 0000000045D4: D3E10038 1CE2B592
	s_add_u32 m0, 0xd00, s48                                   // 0000000045DC: 807C30FF 00000D00
	buffer_load_dword v34, s[4:7], 0 offen lds                 // 0000000045E4: E0511000 80010022
	ds_read_b128 a[48:51], v37 offset:3072                     // 0000000045EC: DBFE0C00 30000025
	ds_read_b128 a[52:55], v37 offset:3136                     // 0000000045F4: DBFE0C40 34000025
	v_mfma_f32_16x16x16_bf16 v[56:59], a[148:149], a[92:93], v[56:59]// 0000000045FC: D3E10038 1CE2B994
	s_add_u32 m0, 0xe00, s48                                   // 000000004604: 807C30FF 00000E00
	buffer_load_dword v35, s[4:7], 0 offen lds                 // 00000000460C: E0511000 80010023
	v_mfma_f32_16x16x16_bf16 v[56:59], a[150:151], a[94:95], v[56:59]// 000000004614: D3E10038 1CE2BD96
	s_add_u32 m0, 0xf00, s48                                   // 00000000461C: 807C30FF 00000F00
	buffer_load_dword v36, s[4:7], 0 offen lds                 // 000000004624: E0511000 80010024
	ds_read_b128 a[56:59], v37 offset:3584                     // 00000000462C: DBFE0E00 38000025
	ds_read_b128 a[60:63], v37 offset:3648                     // 000000004634: DBFE0E40 3C000025
	v_mfma_f32_16x16x16_bf16 v[60:63], a[144:145], a[96:97], v[60:63]// 00000000463C: D3E1003C 1CF2C190
	s_add_u32 s31, 0x100, s33                                  // 000000004644: 801F21FF 00000100
	s_cmp_lt_u32 s31, s34                                      // 00000000464C: BF0A221F
	s_cselect_b32 s44, s44, 0                                  // 000000004650: 852C802C
	buffer_load_dwordx4 a[136:139], v38, s[8:11], 0 offen      // 000000004654: E05C1000 80828826
	v_mfma_f32_16x16x16_bf16 v[60:63], a[146:147], a[98:99], v[60:63]// 00000000465C: D3E1003C 1CF2C592
	buffer_load_dwordx4 a[140:143], v39, s[8:11], 0 offen      // 000000004664: E05C1000 80828C27
	s_add_u32 s4, s44, s4                                      // 00000000466C: 8004042C
	s_addc_u32 s5, 0, s5                                       // 000000004670: 82050580
	v_mfma_f32_16x16x16_bf16 v[60:63], a[148:149], a[100:101], v[60:63]// 000000004674: D3E1003C 1CF2C994
	s_add_u32 s31, 0xc0, s33                                   // 00000000467C: 801F21FF 000000C0
	s_cmp_lt_u32 s31, s34                                      // 000000004684: BF0A221F
	s_cselect_b32 s45, s45, 0                                  // 000000004688: 852D802D
	v_mfma_f32_16x16x16_bf16 v[60:63], a[150:151], a[102:103], v[60:63]// 00000000468C: D3E1003C 1CF2CD96
	s_add_u32 s8, s45, s8                                      // 000000004694: 8008082D
	s_addc_u32 s9, 0, s9                                       // 000000004698: 82090980
	v_mfma_f32_16x16x16_bf16 v[64:67], a[144:145], a[104:105], v[64:67]// 00000000469C: D3E10040 1D02D190
	v_mfma_f32_16x16x16_bf16 v[64:67], a[146:147], a[106:107], v[64:67]// 0000000046A4: D3E10040 1D02D592
	v_mfma_f32_16x16x16_bf16 v[64:67], a[148:149], a[108:109], v[64:67]// 0000000046AC: D3E10040 1D02D994
	v_mfma_f32_16x16x16_bf16 v[64:67], a[150:151], a[110:111], v[64:67]// 0000000046B4: D3E10040 1D02DD96
	v_mfma_f32_16x16x16_bf16 v[68:71], a[144:145], a[112:113], v[68:71]// 0000000046BC: D3E10044 1D12E190
	v_mfma_f32_16x16x16_bf16 v[68:71], a[146:147], a[114:115], v[68:71]// 0000000046C4: D3E10044 1D12E592
	v_mfma_f32_16x16x16_bf16 v[68:71], a[148:149], a[116:117], v[68:71]// 0000000046CC: D3E10044 1D12E994
	v_mfma_f32_16x16x16_bf16 v[68:71], a[150:151], a[118:119], v[68:71]// 0000000046D4: D3E10044 1D12ED96
	v_mfma_f32_16x16x16_bf16 v[72:75], a[144:145], a[120:121], v[72:75]// 0000000046DC: D3E10048 1D22F190
	v_mfma_f32_16x16x16_bf16 v[72:75], a[146:147], a[122:123], v[72:75]// 0000000046E4: D3E10048 1D22F592
	v_mfma_f32_16x16x16_bf16 v[72:75], a[148:149], a[124:125], v[72:75]// 0000000046EC: D3E10048 1D22F994
	v_mfma_f32_16x16x16_bf16 v[72:75], a[150:151], a[126:127], v[72:75]// 0000000046F4: D3E10048 1D22FD96
	s_addk_i32 s33, 0x40                                       // 0000000046FC: B7210040
	s_cmp_lt_i32 s33, s34                                      // 000000004700: BF042221
	s_cbranch_scc0 label_0B7C                                  // 000000004704: BF84043A
	s_branch label_030A                                        // 000000004708: BF82FBC7

000000000000470c <label_0743>:
	s_waitcnt vmcnt(18) lgkmcnt(0)                             // 00000000470C: BF8C4072
	s_barrier                                                  // 000000004710: BF8A0000
	v_mfma_f32_16x16x16_bf16 v[44:47], a[128:129], a[0:1], v[44:47]// 000000004714: D3E1002C 1CB20180
	s_add_u32 m0, 0, s46                                       // 00000000471C: 807C2E80
	buffer_load_dword v21, s[4:7], 0 offen lds                 // 000000004720: E0511000 80010015
	ds_read_b128 a[64:67], v37 offset:16512                    // 000000004728: DBFE4080 40000025
	ds_read_b128 a[68:71], v37 offset:16576                    // 000000004730: DBFE40C0 44000025
	v_mfma_f32_16x16x16_bf16 v[44:47], a[130:131], a[2:3], v[44:47]// 000000004738: D3E1002C 1CB20582
	s_add_u32 m0, 0x100, s46                                   // 000000004740: 807C2EFF 00000100
	buffer_load_dword v22, s[4:7], 0 offen lds                 // 000000004748: E0511000 80010016
	v_mfma_f32_16x16x16_bf16 v[44:47], a[132:133], a[4:5], v[44:47]// 000000004750: D3E1002C 1CB20984
	s_add_u32 m0, 0x200, s46                                   // 000000004758: 807C2EFF 00000200
	buffer_load_dword v23, s[4:7], 0 offen lds                 // 000000004760: E0511000 80010017
	ds_read_b128 a[72:75], v37 offset:17024                    // 000000004768: DBFE4280 48000025
	ds_read_b128 a[76:79], v37 offset:17088                    // 000000004770: DBFE42C0 4C000025
	v_mfma_f32_16x16x16_bf16 v[44:47], a[134:135], a[6:7], v[44:47]// 000000004778: D3E1002C 1CB20D86
	s_add_u32 m0, 0x300, s46                                   // 000000004780: 807C2EFF 00000300
	buffer_load_dword v24, s[4:7], 0 offen lds                 // 000000004788: E0511000 80010018
	v_mfma_f32_16x16x16_bf16 v[48:51], a[128:129], a[8:9], v[48:51]// 000000004790: D3E10030 1CC21180
	s_add_u32 m0, 0x400, s46                                   // 000000004798: 807C2EFF 00000400
	buffer_load_dword v25, s[4:7], 0 offen lds                 // 0000000047A0: E0511000 80010019
	ds_read_b128 a[80:83], v37 offset:17536                    // 0000000047A8: DBFE4480 50000025
	ds_read_b128 a[84:87], v37 offset:17600                    // 0000000047B0: DBFE44C0 54000025
	v_mfma_f32_16x16x16_bf16 v[48:51], a[130:131], a[10:11], v[48:51]// 0000000047B8: D3E10030 1CC21582
	s_add_u32 m0, 0x500, s46                                   // 0000000047C0: 807C2EFF 00000500
	buffer_load_dword v26, s[4:7], 0 offen lds                 // 0000000047C8: E0511000 8001001A
	v_mfma_f32_16x16x16_bf16 v[48:51], a[132:133], a[12:13], v[48:51]// 0000000047D0: D3E10030 1CC21984
	s_add_u32 m0, 0x600, s46                                   // 0000000047D8: 807C2EFF 00000600
	buffer_load_dword v27, s[4:7], 0 offen lds                 // 0000000047E0: E0511000 8001001B
	ds_read_b128 a[88:91], v37 offset:18048                    // 0000000047E8: DBFE4680 58000025
	ds_read_b128 a[92:95], v37 offset:18112                    // 0000000047F0: DBFE46C0 5C000025
	v_mfma_f32_16x16x16_bf16 v[48:51], a[134:135], a[14:15], v[48:51]// 0000000047F8: D3E10030 1CC21D86
	s_add_u32 m0, 0x700, s46                                   // 000000004800: 807C2EFF 00000700
	buffer_load_dword v28, s[4:7], 0 offen lds                 // 000000004808: E0511000 8001001C
	v_mfma_f32_16x16x16_bf16 v[52:55], a[128:129], a[16:17], v[52:55]// 000000004810: D3E10034 1CD22180
	s_add_u32 m0, 0x800, s46                                   // 000000004818: 807C2EFF 00000800
	buffer_load_dword v29, s[4:7], 0 offen lds                 // 000000004820: E0511000 8001001D
	ds_read_b128 a[96:99], v37 offset:18560                    // 000000004828: DBFE4880 60000025
	ds_read_b128 a[100:103], v37 offset:18624                  // 000000004830: DBFE48C0 64000025
	v_mfma_f32_16x16x16_bf16 v[52:55], a[130:131], a[18:19], v[52:55]// 000000004838: D3E10034 1CD22582
	s_add_u32 m0, 0x900, s46                                   // 000000004840: 807C2EFF 00000900
	buffer_load_dword v30, s[4:7], 0 offen lds                 // 000000004848: E0511000 8001001E
	v_mfma_f32_16x16x16_bf16 v[52:55], a[132:133], a[20:21], v[52:55]// 000000004850: D3E10034 1CD22984
	s_add_u32 m0, 0xa00, s46                                   // 000000004858: 807C2EFF 00000A00
	buffer_load_dword v31, s[4:7], 0 offen lds                 // 000000004860: E0511000 8001001F
	ds_read_b128 a[104:107], v37 offset:19072                  // 000000004868: DBFE4A80 68000025
	ds_read_b128 a[108:111], v37 offset:19136                  // 000000004870: DBFE4AC0 6C000025
	v_mfma_f32_16x16x16_bf16 v[52:55], a[134:135], a[22:23], v[52:55]// 000000004878: D3E10034 1CD22D86
	s_add_u32 m0, 0xb00, s46                                   // 000000004880: 807C2EFF 00000B00
	buffer_load_dword v32, s[4:7], 0 offen lds                 // 000000004888: E0511000 80010020
	v_mfma_f32_16x16x16_bf16 v[56:59], a[128:129], a[24:25], v[56:59]// 000000004890: D3E10038 1CE23180
	s_add_u32 m0, 0xc00, s46                                   // 000000004898: 807C2EFF 00000C00
	buffer_load_dword v33, s[4:7], 0 offen lds                 // 0000000048A0: E0511000 80010021
	ds_read_b128 a[112:115], v37 offset:19584                  // 0000000048A8: DBFE4C80 70000025
	ds_read_b128 a[116:119], v37 offset:19648                  // 0000000048B0: DBFE4CC0 74000025
	v_mfma_f32_16x16x16_bf16 v[56:59], a[130:131], a[26:27], v[56:59]// 0000000048B8: D3E10038 1CE23582
	s_add_u32 m0, 0xd00, s46                                   // 0000000048C0: 807C2EFF 00000D00
	buffer_load_dword v34, s[4:7], 0 offen lds                 // 0000000048C8: E0511000 80010022
	v_mfma_f32_16x16x16_bf16 v[56:59], a[132:133], a[28:29], v[56:59]// 0000000048D0: D3E10038 1CE23984
	s_add_u32 m0, 0xe00, s46                                   // 0000000048D8: 807C2EFF 00000E00
	buffer_load_dword v35, s[4:7], 0 offen lds                 // 0000000048E0: E0511000 80010023
	ds_read_b128 a[120:123], v37 offset:20096                  // 0000000048E8: DBFE4E80 78000025
	ds_read_b128 a[124:127], v37 offset:20160                  // 0000000048F0: DBFE4EC0 7C000025
	v_mfma_f32_16x16x16_bf16 v[56:59], a[134:135], a[30:31], v[56:59]// 0000000048F8: D3E10038 1CE23D86
	s_add_u32 m0, 0xf00, s46                                   // 000000004900: 807C2EFF 00000F00
	buffer_load_dword v36, s[4:7], 0 offen lds                 // 000000004908: E0511000 80010024
	v_mfma_f32_16x16x16_bf16 v[60:63], a[128:129], a[32:33], v[60:63]// 000000004910: D3E1003C 1CF24180
	s_add_u32 s31, 0x100, s33                                  // 000000004918: 801F21FF 00000100
	s_cmp_lt_u32 s31, s34                                      // 000000004920: BF0A221F
	s_cselect_b32 s44, s44, 0                                  // 000000004924: 852C802C
	buffer_load_dwordx4 a[144:147], v38, s[8:11], 0 offen      // 000000004928: E05C1000 80829026
	s_add_u32 s4, s44, s4                                      // 000000004930: 8004042C
	s_addc_u32 s5, 0, s5                                       // 000000004934: 82050580
	v_mfma_f32_16x16x16_bf16 v[60:63], a[130:131], a[34:35], v[60:63]// 000000004938: D3E1003C 1CF24582
	buffer_load_dwordx4 a[148:151], v39, s[8:11], 0 offen      // 000000004940: E05C1000 80829427
	v_mfma_f32_16x16x16_bf16 v[60:63], a[132:133], a[36:37], v[60:63]// 000000004948: D3E1003C 1CF24984
	s_add_u32 s31, 0xc0, s33                                   // 000000004950: 801F21FF 000000C0
	s_cmp_lt_u32 s31, s34                                      // 000000004958: BF0A221F
	s_cselect_b32 s45, s45, 0                                  // 00000000495C: 852D802D
	s_add_u32 s8, s45, s8                                      // 000000004960: 8008082D
	s_addc_u32 s9, 0, s9                                       // 000000004964: 82090980
	v_mfma_f32_16x16x16_bf16 v[60:63], a[134:135], a[38:39], v[60:63]// 000000004968: D3E1003C 1CF24D86
	v_mfma_f32_16x16x16_bf16 v[64:67], a[128:129], a[40:41], v[64:67]// 000000004970: D3E10040 1D025180
	v_mfma_f32_16x16x16_bf16 v[64:67], a[130:131], a[42:43], v[64:67]// 000000004978: D3E10040 1D025582
	v_mfma_f32_16x16x16_bf16 v[64:67], a[132:133], a[44:45], v[64:67]// 000000004980: D3E10040 1D025984
	v_mfma_f32_16x16x16_bf16 v[64:67], a[134:135], a[46:47], v[64:67]// 000000004988: D3E10040 1D025D86
	v_mfma_f32_16x16x16_bf16 v[68:71], a[128:129], a[48:49], v[68:71]// 000000004990: D3E10044 1D126180
	v_mfma_f32_16x16x16_bf16 v[68:71], a[130:131], a[50:51], v[68:71]// 000000004998: D3E10044 1D126582
	v_mfma_f32_16x16x16_bf16 v[68:71], a[132:133], a[52:53], v[68:71]// 0000000049A0: D3E10044 1D126984
	v_mfma_f32_16x16x16_bf16 v[68:71], a[134:135], a[54:55], v[68:71]// 0000000049A8: D3E10044 1D126D86
	v_mfma_f32_16x16x16_bf16 v[72:75], a[128:129], a[56:57], v[72:75]// 0000000049B0: D3E10048 1D227180
	v_mfma_f32_16x16x16_bf16 v[72:75], a[130:131], a[58:59], v[72:75]// 0000000049B8: D3E10048 1D227582
	v_mfma_f32_16x16x16_bf16 v[72:75], a[132:133], a[60:61], v[72:75]// 0000000049C0: D3E10048 1D227984
	v_mfma_f32_16x16x16_bf16 v[72:75], a[134:135], a[62:63], v[72:75]// 0000000049C8: D3E10048 1D227D86
	s_addk_i32 s33, 0x40                                       // 0000000049D0: B7210040
	s_cmp_lt_i32 s33, s34                                      // 0000000049D4: BF042221
	s_cbranch_scc0 label_0B7C                                  // 0000000049D8: BF840385
	s_waitcnt vmcnt(18) lgkmcnt(0)                             // 0000000049DC: BF8C4072
	s_barrier                                                  // 0000000049E0: BF8A0000
	v_mfma_f32_16x16x16_bf16 v[44:47], a[136:137], a[64:65], v[44:47]// 0000000049E4: D3E1002C 1CB28188
	s_add_u32 m0, 0, s47                                       // 0000000049EC: 807C2F80
	buffer_load_dword v21, s[4:7], 0 offen lds                 // 0000000049F0: E0511000 80010015
	ds_read_b128 a[0:3], v37 offset:33024                      // 0000000049F8: DBFE8100 00000025
	ds_read_b128 a[4:7], v37 offset:33088                      // 000000004A00: DBFE8140 04000025
	v_mfma_f32_16x16x16_bf16 v[44:47], a[138:139], a[66:67], v[44:47]// 000000004A08: D3E1002C 1CB2858A
	s_add_u32 m0, 0x100, s47                                   // 000000004A10: 807C2FFF 00000100
	buffer_load_dword v22, s[4:7], 0 offen lds                 // 000000004A18: E0511000 80010016
	v_mfma_f32_16x16x16_bf16 v[44:47], a[140:141], a[68:69], v[44:47]// 000000004A20: D3E1002C 1CB2898C
	s_add_u32 m0, 0x200, s47                                   // 000000004A28: 807C2FFF 00000200
	buffer_load_dword v23, s[4:7], 0 offen lds                 // 000000004A30: E0511000 80010017
	ds_read_b128 a[8:11], v37 offset:33536                     // 000000004A38: DBFE8300 08000025
	ds_read_b128 a[12:15], v37 offset:33600                    // 000000004A40: DBFE8340 0C000025
	v_mfma_f32_16x16x16_bf16 v[44:47], a[142:143], a[70:71], v[44:47]// 000000004A48: D3E1002C 1CB28D8E
	s_add_u32 m0, 0x300, s47                                   // 000000004A50: 807C2FFF 00000300
	buffer_load_dword v24, s[4:7], 0 offen lds                 // 000000004A58: E0511000 80010018
	v_mfma_f32_16x16x16_bf16 v[48:51], a[136:137], a[72:73], v[48:51]// 000000004A60: D3E10030 1CC29188
	s_add_u32 m0, 0x400, s47                                   // 000000004A68: 807C2FFF 00000400
	buffer_load_dword v25, s[4:7], 0 offen lds                 // 000000004A70: E0511000 80010019
	ds_read_b128 a[16:19], v37 offset:34048                    // 000000004A78: DBFE8500 10000025
	ds_read_b128 a[20:23], v37 offset:34112                    // 000000004A80: DBFE8540 14000025
	v_mfma_f32_16x16x16_bf16 v[48:51], a[138:139], a[74:75], v[48:51]// 000000004A88: D3E10030 1CC2958A
	s_add_u32 m0, 0x500, s47                                   // 000000004A90: 807C2FFF 00000500
	buffer_load_dword v26, s[4:7], 0 offen lds                 // 000000004A98: E0511000 8001001A
	v_mfma_f32_16x16x16_bf16 v[48:51], a[140:141], a[76:77], v[48:51]// 000000004AA0: D3E10030 1CC2998C
	s_add_u32 m0, 0x600, s47                                   // 000000004AA8: 807C2FFF 00000600
	buffer_load_dword v27, s[4:7], 0 offen lds                 // 000000004AB0: E0511000 8001001B
	ds_read_b128 a[24:27], v37 offset:34560                    // 000000004AB8: DBFE8700 18000025
	ds_read_b128 a[28:31], v37 offset:34624                    // 000000004AC0: DBFE8740 1C000025
	v_mfma_f32_16x16x16_bf16 v[48:51], a[142:143], a[78:79], v[48:51]// 000000004AC8: D3E10030 1CC29D8E
	s_add_u32 m0, 0x700, s47                                   // 000000004AD0: 807C2FFF 00000700
	buffer_load_dword v28, s[4:7], 0 offen lds                 // 000000004AD8: E0511000 8001001C
	v_mfma_f32_16x16x16_bf16 v[52:55], a[136:137], a[80:81], v[52:55]// 000000004AE0: D3E10034 1CD2A188
	s_add_u32 m0, 0x800, s47                                   // 000000004AE8: 807C2FFF 00000800
	buffer_load_dword v29, s[4:7], 0 offen lds                 // 000000004AF0: E0511000 8001001D
	ds_read_b128 a[32:35], v37 offset:35072                    // 000000004AF8: DBFE8900 20000025
	ds_read_b128 a[36:39], v37 offset:35136                    // 000000004B00: DBFE8940 24000025
	v_mfma_f32_16x16x16_bf16 v[52:55], a[138:139], a[82:83], v[52:55]// 000000004B08: D3E10034 1CD2A58A
	s_add_u32 m0, 0x900, s47                                   // 000000004B10: 807C2FFF 00000900
	buffer_load_dword v30, s[4:7], 0 offen lds                 // 000000004B18: E0511000 8001001E
	v_mfma_f32_16x16x16_bf16 v[52:55], a[140:141], a[84:85], v[52:55]// 000000004B20: D3E10034 1CD2A98C
	s_add_u32 m0, 0xa00, s47                                   // 000000004B28: 807C2FFF 00000A00
	buffer_load_dword v31, s[4:7], 0 offen lds                 // 000000004B30: E0511000 8001001F
	ds_read_b128 a[40:43], v37 offset:35584                    // 000000004B38: DBFE8B00 28000025
	ds_read_b128 a[44:47], v37 offset:35648                    // 000000004B40: DBFE8B40 2C000025
	v_mfma_f32_16x16x16_bf16 v[52:55], a[142:143], a[86:87], v[52:55]// 000000004B48: D3E10034 1CD2AD8E
	s_add_u32 m0, 0xb00, s47                                   // 000000004B50: 807C2FFF 00000B00
	buffer_load_dword v32, s[4:7], 0 offen lds                 // 000000004B58: E0511000 80010020
	v_mfma_f32_16x16x16_bf16 v[56:59], a[136:137], a[88:89], v[56:59]// 000000004B60: D3E10038 1CE2B188
	s_add_u32 m0, 0xc00, s47                                   // 000000004B68: 807C2FFF 00000C00
	buffer_load_dword v33, s[4:7], 0 offen lds                 // 000000004B70: E0511000 80010021
	ds_read_b128 a[48:51], v37 offset:36096                    // 000000004B78: DBFE8D00 30000025
	ds_read_b128 a[52:55], v37 offset:36160                    // 000000004B80: DBFE8D40 34000025
	v_mfma_f32_16x16x16_bf16 v[56:59], a[138:139], a[90:91], v[56:59]// 000000004B88: D3E10038 1CE2B58A
	s_add_u32 m0, 0xd00, s47                                   // 000000004B90: 807C2FFF 00000D00
	buffer_load_dword v34, s[4:7], 0 offen lds                 // 000000004B98: E0511000 80010022
	v_mfma_f32_16x16x16_bf16 v[56:59], a[140:141], a[92:93], v[56:59]// 000000004BA0: D3E10038 1CE2B98C
	s_add_u32 m0, 0xe00, s47                                   // 000000004BA8: 807C2FFF 00000E00
	buffer_load_dword v35, s[4:7], 0 offen lds                 // 000000004BB0: E0511000 80010023
	ds_read_b128 a[56:59], v37 offset:36608                    // 000000004BB8: DBFE8F00 38000025
	ds_read_b128 a[60:63], v37 offset:36672                    // 000000004BC0: DBFE8F40 3C000025
	v_mfma_f32_16x16x16_bf16 v[56:59], a[142:143], a[94:95], v[56:59]// 000000004BC8: D3E10038 1CE2BD8E
	s_add_u32 m0, 0xf00, s47                                   // 000000004BD0: 807C2FFF 00000F00
	buffer_load_dword v36, s[4:7], 0 offen lds                 // 000000004BD8: E0511000 80010024
	v_mfma_f32_16x16x16_bf16 v[60:63], a[136:137], a[96:97], v[60:63]// 000000004BE0: D3E1003C 1CF2C188
	s_add_u32 s31, 0x100, s33                                  // 000000004BE8: 801F21FF 00000100
	s_cmp_lt_u32 s31, s34                                      // 000000004BF0: BF0A221F
	s_cselect_b32 s44, s44, 0                                  // 000000004BF4: 852C802C
	buffer_load_dwordx4 a[128:131], v38, s[8:11], 0 offen      // 000000004BF8: E05C1000 80828026
	s_add_u32 s4, s44, s4                                      // 000000004C00: 8004042C
	s_addc_u32 s5, 0, s5                                       // 000000004C04: 82050580
	v_mfma_f32_16x16x16_bf16 v[60:63], a[138:139], a[98:99], v[60:63]// 000000004C08: D3E1003C 1CF2C58A
	buffer_load_dwordx4 a[132:135], v39, s[8:11], 0 offen      // 000000004C10: E05C1000 80828427
	v_mfma_f32_16x16x16_bf16 v[60:63], a[140:141], a[100:101], v[60:63]// 000000004C18: D3E1003C 1CF2C98C
	s_add_u32 s31, 0xc0, s33                                   // 000000004C20: 801F21FF 000000C0
	s_cmp_lt_u32 s31, s34                                      // 000000004C28: BF0A221F
	s_cselect_b32 s45, s45, 0                                  // 000000004C2C: 852D802D
	s_add_u32 s8, s45, s8                                      // 000000004C30: 8008082D
	s_addc_u32 s9, 0, s9                                       // 000000004C34: 82090980
	v_mfma_f32_16x16x16_bf16 v[60:63], a[142:143], a[102:103], v[60:63]// 000000004C38: D3E1003C 1CF2CD8E
	v_mfma_f32_16x16x16_bf16 v[64:67], a[136:137], a[104:105], v[64:67]// 000000004C40: D3E10040 1D02D188
	v_mfma_f32_16x16x16_bf16 v[64:67], a[138:139], a[106:107], v[64:67]// 000000004C48: D3E10040 1D02D58A
	v_mfma_f32_16x16x16_bf16 v[64:67], a[140:141], a[108:109], v[64:67]// 000000004C50: D3E10040 1D02D98C
	v_mfma_f32_16x16x16_bf16 v[64:67], a[142:143], a[110:111], v[64:67]// 000000004C58: D3E10040 1D02DD8E
	v_mfma_f32_16x16x16_bf16 v[68:71], a[136:137], a[112:113], v[68:71]// 000000004C60: D3E10044 1D12E188
	v_mfma_f32_16x16x16_bf16 v[68:71], a[138:139], a[114:115], v[68:71]// 000000004C68: D3E10044 1D12E58A
	v_mfma_f32_16x16x16_bf16 v[68:71], a[140:141], a[116:117], v[68:71]// 000000004C70: D3E10044 1D12E98C
	v_mfma_f32_16x16x16_bf16 v[68:71], a[142:143], a[118:119], v[68:71]// 000000004C78: D3E10044 1D12ED8E
	v_mfma_f32_16x16x16_bf16 v[72:75], a[136:137], a[120:121], v[72:75]// 000000004C80: D3E10048 1D22F188
	v_mfma_f32_16x16x16_bf16 v[72:75], a[138:139], a[122:123], v[72:75]// 000000004C88: D3E10048 1D22F58A
	v_mfma_f32_16x16x16_bf16 v[72:75], a[140:141], a[124:125], v[72:75]// 000000004C90: D3E10048 1D22F98C
	v_mfma_f32_16x16x16_bf16 v[72:75], a[142:143], a[126:127], v[72:75]// 000000004C98: D3E10048 1D22FD8E
	s_addk_i32 s33, 0x40                                       // 000000004CA0: B7210040
	s_cmp_lt_i32 s33, s34                                      // 000000004CA4: BF042221
	s_cbranch_scc0 label_0B7C                                  // 000000004CA8: BF8402D1
	s_waitcnt vmcnt(18) lgkmcnt(0)                             // 000000004CAC: BF8C4072
	s_barrier                                                  // 000000004CB0: BF8A0000
	v_mfma_f32_16x16x16_bf16 v[44:47], a[144:145], a[0:1], v[44:47]// 000000004CB4: D3E1002C 1CB20190
	s_add_u32 m0, 0, s48                                       // 000000004CBC: 807C3080
	buffer_load_dword v21, s[4:7], 0 offen lds                 // 000000004CC0: E0511000 80010015
	ds_read_b128 a[64:67], v37                                 // 000000004CC8: DBFE0000 40000025
	ds_read_b128 a[68:71], v37 offset:64                       // 000000004CD0: DBFE0040 44000025
	v_mfma_f32_16x16x16_bf16 v[44:47], a[146:147], a[2:3], v[44:47]// 000000004CD8: D3E1002C 1CB20592
	s_add_u32 m0, 0x100, s48                                   // 000000004CE0: 807C30FF 00000100
	buffer_load_dword v22, s[4:7], 0 offen lds                 // 000000004CE8: E0511000 80010016
	v_mfma_f32_16x16x16_bf16 v[44:47], a[148:149], a[4:5], v[44:47]// 000000004CF0: D3E1002C 1CB20994
	s_add_u32 m0, 0x200, s48                                   // 000000004CF8: 807C30FF 00000200
	buffer_load_dword v23, s[4:7], 0 offen lds                 // 000000004D00: E0511000 80010017
	ds_read_b128 a[72:75], v37 offset:512                      // 000000004D08: DBFE0200 48000025
	ds_read_b128 a[76:79], v37 offset:576                      // 000000004D10: DBFE0240 4C000025
	v_mfma_f32_16x16x16_bf16 v[44:47], a[150:151], a[6:7], v[44:47]// 000000004D18: D3E1002C 1CB20D96
	s_add_u32 m0, 0x300, s48                                   // 000000004D20: 807C30FF 00000300
	buffer_load_dword v24, s[4:7], 0 offen lds                 // 000000004D28: E0511000 80010018
	v_mfma_f32_16x16x16_bf16 v[48:51], a[144:145], a[8:9], v[48:51]// 000000004D30: D3E10030 1CC21190
	s_add_u32 m0, 0x400, s48                                   // 000000004D38: 807C30FF 00000400
	buffer_load_dword v25, s[4:7], 0 offen lds                 // 000000004D40: E0511000 80010019
	ds_read_b128 a[80:83], v37 offset:1024                     // 000000004D48: DBFE0400 50000025
	ds_read_b128 a[84:87], v37 offset:1088                     // 000000004D50: DBFE0440 54000025
	v_mfma_f32_16x16x16_bf16 v[48:51], a[146:147], a[10:11], v[48:51]// 000000004D58: D3E10030 1CC21592
	s_add_u32 m0, 0x500, s48                                   // 000000004D60: 807C30FF 00000500
	buffer_load_dword v26, s[4:7], 0 offen lds                 // 000000004D68: E0511000 8001001A
	v_mfma_f32_16x16x16_bf16 v[48:51], a[148:149], a[12:13], v[48:51]// 000000004D70: D3E10030 1CC21994
	s_add_u32 m0, 0x600, s48                                   // 000000004D78: 807C30FF 00000600
	buffer_load_dword v27, s[4:7], 0 offen lds                 // 000000004D80: E0511000 8001001B
	ds_read_b128 a[88:91], v37 offset:1536                     // 000000004D88: DBFE0600 58000025
	ds_read_b128 a[92:95], v37 offset:1600                     // 000000004D90: DBFE0640 5C000025
	v_mfma_f32_16x16x16_bf16 v[48:51], a[150:151], a[14:15], v[48:51]// 000000004D98: D3E10030 1CC21D96
	s_add_u32 m0, 0x700, s48                                   // 000000004DA0: 807C30FF 00000700
	buffer_load_dword v28, s[4:7], 0 offen lds                 // 000000004DA8: E0511000 8001001C
	v_mfma_f32_16x16x16_bf16 v[52:55], a[144:145], a[16:17], v[52:55]// 000000004DB0: D3E10034 1CD22190
	s_add_u32 m0, 0x800, s48                                   // 000000004DB8: 807C30FF 00000800
	buffer_load_dword v29, s[4:7], 0 offen lds                 // 000000004DC0: E0511000 8001001D
	ds_read_b128 a[96:99], v37 offset:2048                     // 000000004DC8: DBFE0800 60000025
	ds_read_b128 a[100:103], v37 offset:2112                   // 000000004DD0: DBFE0840 64000025
	v_mfma_f32_16x16x16_bf16 v[52:55], a[146:147], a[18:19], v[52:55]// 000000004DD8: D3E10034 1CD22592
	s_add_u32 m0, 0x900, s48                                   // 000000004DE0: 807C30FF 00000900
	buffer_load_dword v30, s[4:7], 0 offen lds                 // 000000004DE8: E0511000 8001001E
	v_mfma_f32_16x16x16_bf16 v[52:55], a[148:149], a[20:21], v[52:55]// 000000004DF0: D3E10034 1CD22994
	s_add_u32 m0, 0xa00, s48                                   // 000000004DF8: 807C30FF 00000A00
	buffer_load_dword v31, s[4:7], 0 offen lds                 // 000000004E00: E0511000 8001001F
	ds_read_b128 a[104:107], v37 offset:2560                   // 000000004E08: DBFE0A00 68000025
	ds_read_b128 a[108:111], v37 offset:2624                   // 000000004E10: DBFE0A40 6C000025
	v_mfma_f32_16x16x16_bf16 v[52:55], a[150:151], a[22:23], v[52:55]// 000000004E18: D3E10034 1CD22D96
	s_add_u32 m0, 0xb00, s48                                   // 000000004E20: 807C30FF 00000B00
	buffer_load_dword v32, s[4:7], 0 offen lds                 // 000000004E28: E0511000 80010020
	v_mfma_f32_16x16x16_bf16 v[56:59], a[144:145], a[24:25], v[56:59]// 000000004E30: D3E10038 1CE23190
	s_add_u32 m0, 0xc00, s48                                   // 000000004E38: 807C30FF 00000C00
	buffer_load_dword v33, s[4:7], 0 offen lds                 // 000000004E40: E0511000 80010021
	ds_read_b128 a[112:115], v37 offset:3072                   // 000000004E48: DBFE0C00 70000025
	ds_read_b128 a[116:119], v37 offset:3136                   // 000000004E50: DBFE0C40 74000025
	v_mfma_f32_16x16x16_bf16 v[56:59], a[146:147], a[26:27], v[56:59]// 000000004E58: D3E10038 1CE23592
	s_add_u32 m0, 0xd00, s48                                   // 000000004E60: 807C30FF 00000D00
	buffer_load_dword v34, s[4:7], 0 offen lds                 // 000000004E68: E0511000 80010022
	v_mfma_f32_16x16x16_bf16 v[56:59], a[148:149], a[28:29], v[56:59]// 000000004E70: D3E10038 1CE23994
	s_add_u32 m0, 0xe00, s48                                   // 000000004E78: 807C30FF 00000E00
	buffer_load_dword v35, s[4:7], 0 offen lds                 // 000000004E80: E0511000 80010023
	ds_read_b128 a[120:123], v37 offset:3584                   // 000000004E88: DBFE0E00 78000025
	ds_read_b128 a[124:127], v37 offset:3648                   // 000000004E90: DBFE0E40 7C000025
	v_mfma_f32_16x16x16_bf16 v[56:59], a[150:151], a[30:31], v[56:59]// 000000004E98: D3E10038 1CE23D96
	s_add_u32 m0, 0xf00, s48                                   // 000000004EA0: 807C30FF 00000F00
	buffer_load_dword v36, s[4:7], 0 offen lds                 // 000000004EA8: E0511000 80010024
	v_mfma_f32_16x16x16_bf16 v[60:63], a[144:145], a[32:33], v[60:63]// 000000004EB0: D3E1003C 1CF24190
	s_add_u32 s31, 0x100, s33                                  // 000000004EB8: 801F21FF 00000100
	s_cmp_lt_u32 s31, s34                                      // 000000004EC0: BF0A221F
	s_cselect_b32 s44, s44, 0                                  // 000000004EC4: 852C802C
	buffer_load_dwordx4 a[136:139], v38, s[8:11], 0 offen      // 000000004EC8: E05C1000 80828826
	s_add_u32 s4, s44, s4                                      // 000000004ED0: 8004042C
	s_addc_u32 s5, 0, s5                                       // 000000004ED4: 82050580
	v_mfma_f32_16x16x16_bf16 v[60:63], a[146:147], a[34:35], v[60:63]// 000000004ED8: D3E1003C 1CF24592
	buffer_load_dwordx4 a[140:143], v39, s[8:11], 0 offen      // 000000004EE0: E05C1000 80828C27
	v_mfma_f32_16x16x16_bf16 v[60:63], a[148:149], a[36:37], v[60:63]// 000000004EE8: D3E1003C 1CF24994
	s_add_u32 s31, 0xc0, s33                                   // 000000004EF0: 801F21FF 000000C0
	s_cmp_lt_u32 s31, s34                                      // 000000004EF8: BF0A221F
	s_cselect_b32 s45, s45, 0                                  // 000000004EFC: 852D802D
	s_add_u32 s8, s45, s8                                      // 000000004F00: 8008082D
	s_addc_u32 s9, 0, s9                                       // 000000004F04: 82090980
	v_mfma_f32_16x16x16_bf16 v[60:63], a[150:151], a[38:39], v[60:63]// 000000004F08: D3E1003C 1CF24D96
	v_mfma_f32_16x16x16_bf16 v[64:67], a[144:145], a[40:41], v[64:67]// 000000004F10: D3E10040 1D025190
	v_mfma_f32_16x16x16_bf16 v[64:67], a[146:147], a[42:43], v[64:67]// 000000004F18: D3E10040 1D025592
	v_mfma_f32_16x16x16_bf16 v[64:67], a[148:149], a[44:45], v[64:67]// 000000004F20: D3E10040 1D025994
	v_mfma_f32_16x16x16_bf16 v[64:67], a[150:151], a[46:47], v[64:67]// 000000004F28: D3E10040 1D025D96
	v_mfma_f32_16x16x16_bf16 v[68:71], a[144:145], a[48:49], v[68:71]// 000000004F30: D3E10044 1D126190
	v_mfma_f32_16x16x16_bf16 v[68:71], a[146:147], a[50:51], v[68:71]// 000000004F38: D3E10044 1D126592
	v_mfma_f32_16x16x16_bf16 v[68:71], a[148:149], a[52:53], v[68:71]// 000000004F40: D3E10044 1D126994
	v_mfma_f32_16x16x16_bf16 v[68:71], a[150:151], a[54:55], v[68:71]// 000000004F48: D3E10044 1D126D96
	v_mfma_f32_16x16x16_bf16 v[72:75], a[144:145], a[56:57], v[72:75]// 000000004F50: D3E10048 1D227190
	v_mfma_f32_16x16x16_bf16 v[72:75], a[146:147], a[58:59], v[72:75]// 000000004F58: D3E10048 1D227592
	v_mfma_f32_16x16x16_bf16 v[72:75], a[148:149], a[60:61], v[72:75]// 000000004F60: D3E10048 1D227994
	v_mfma_f32_16x16x16_bf16 v[72:75], a[150:151], a[62:63], v[72:75]// 000000004F68: D3E10048 1D227D96
	s_addk_i32 s33, 0x40                                       // 000000004F70: B7210040
	s_cmp_lt_i32 s33, s34                                      // 000000004F74: BF042221
	s_cbranch_scc0 label_0B7C                                  // 000000004F78: BF84021D
	s_waitcnt vmcnt(18) lgkmcnt(0)                             // 000000004F7C: BF8C4072
	s_barrier                                                  // 000000004F80: BF8A0000
	v_mfma_f32_16x16x16_bf16 v[44:47], a[128:129], a[64:65], v[44:47]// 000000004F84: D3E1002C 1CB28180
	s_add_u32 m0, 0, s46                                       // 000000004F8C: 807C2E80
	buffer_load_dword v21, s[4:7], 0 offen lds                 // 000000004F90: E0511000 80010015
	ds_read_b128 a[0:3], v37 offset:16512                      // 000000004F98: DBFE4080 00000025
	ds_read_b128 a[4:7], v37 offset:16576                      // 000000004FA0: DBFE40C0 04000025
	v_mfma_f32_16x16x16_bf16 v[44:47], a[130:131], a[66:67], v[44:47]// 000000004FA8: D3E1002C 1CB28582
	s_add_u32 m0, 0x100, s46                                   // 000000004FB0: 807C2EFF 00000100
	buffer_load_dword v22, s[4:7], 0 offen lds                 // 000000004FB8: E0511000 80010016
	v_mfma_f32_16x16x16_bf16 v[44:47], a[132:133], a[68:69], v[44:47]// 000000004FC0: D3E1002C 1CB28984
	s_add_u32 m0, 0x200, s46                                   // 000000004FC8: 807C2EFF 00000200
	buffer_load_dword v23, s[4:7], 0 offen lds                 // 000000004FD0: E0511000 80010017
	ds_read_b128 a[8:11], v37 offset:17024                     // 000000004FD8: DBFE4280 08000025
	ds_read_b128 a[12:15], v37 offset:17088                    // 000000004FE0: DBFE42C0 0C000025
	v_mfma_f32_16x16x16_bf16 v[44:47], a[134:135], a[70:71], v[44:47]// 000000004FE8: D3E1002C 1CB28D86
	s_add_u32 m0, 0x300, s46                                   // 000000004FF0: 807C2EFF 00000300
	buffer_load_dword v24, s[4:7], 0 offen lds                 // 000000004FF8: E0511000 80010018
	v_mfma_f32_16x16x16_bf16 v[48:51], a[128:129], a[72:73], v[48:51]// 000000005000: D3E10030 1CC29180
	s_add_u32 m0, 0x400, s46                                   // 000000005008: 807C2EFF 00000400
	buffer_load_dword v25, s[4:7], 0 offen lds                 // 000000005010: E0511000 80010019
	ds_read_b128 a[16:19], v37 offset:17536                    // 000000005018: DBFE4480 10000025
	ds_read_b128 a[20:23], v37 offset:17600                    // 000000005020: DBFE44C0 14000025
	v_mfma_f32_16x16x16_bf16 v[48:51], a[130:131], a[74:75], v[48:51]// 000000005028: D3E10030 1CC29582
	s_add_u32 m0, 0x500, s46                                   // 000000005030: 807C2EFF 00000500
	buffer_load_dword v26, s[4:7], 0 offen lds                 // 000000005038: E0511000 8001001A
	v_mfma_f32_16x16x16_bf16 v[48:51], a[132:133], a[76:77], v[48:51]// 000000005040: D3E10030 1CC29984
	s_add_u32 m0, 0x600, s46                                   // 000000005048: 807C2EFF 00000600
	buffer_load_dword v27, s[4:7], 0 offen lds                 // 000000005050: E0511000 8001001B
	ds_read_b128 a[24:27], v37 offset:18048                    // 000000005058: DBFE4680 18000025
	ds_read_b128 a[28:31], v37 offset:18112                    // 000000005060: DBFE46C0 1C000025
	v_mfma_f32_16x16x16_bf16 v[48:51], a[134:135], a[78:79], v[48:51]// 000000005068: D3E10030 1CC29D86
	s_add_u32 m0, 0x700, s46                                   // 000000005070: 807C2EFF 00000700
	buffer_load_dword v28, s[4:7], 0 offen lds                 // 000000005078: E0511000 8001001C
	v_mfma_f32_16x16x16_bf16 v[52:55], a[128:129], a[80:81], v[52:55]// 000000005080: D3E10034 1CD2A180
	s_add_u32 m0, 0x800, s46                                   // 000000005088: 807C2EFF 00000800
	buffer_load_dword v29, s[4:7], 0 offen lds                 // 000000005090: E0511000 8001001D
	ds_read_b128 a[32:35], v37 offset:18560                    // 000000005098: DBFE4880 20000025
	ds_read_b128 a[36:39], v37 offset:18624                    // 0000000050A0: DBFE48C0 24000025
	v_mfma_f32_16x16x16_bf16 v[52:55], a[130:131], a[82:83], v[52:55]// 0000000050A8: D3E10034 1CD2A582
	s_add_u32 m0, 0x900, s46                                   // 0000000050B0: 807C2EFF 00000900
	buffer_load_dword v30, s[4:7], 0 offen lds                 // 0000000050B8: E0511000 8001001E
	v_mfma_f32_16x16x16_bf16 v[52:55], a[132:133], a[84:85], v[52:55]// 0000000050C0: D3E10034 1CD2A984
	s_add_u32 m0, 0xa00, s46                                   // 0000000050C8: 807C2EFF 00000A00
	buffer_load_dword v31, s[4:7], 0 offen lds                 // 0000000050D0: E0511000 8001001F
	ds_read_b128 a[40:43], v37 offset:19072                    // 0000000050D8: DBFE4A80 28000025
	ds_read_b128 a[44:47], v37 offset:19136                    // 0000000050E0: DBFE4AC0 2C000025
	v_mfma_f32_16x16x16_bf16 v[52:55], a[134:135], a[86:87], v[52:55]// 0000000050E8: D3E10034 1CD2AD86
	s_add_u32 m0, 0xb00, s46                                   // 0000000050F0: 807C2EFF 00000B00
	buffer_load_dword v32, s[4:7], 0 offen lds                 // 0000000050F8: E0511000 80010020
	v_mfma_f32_16x16x16_bf16 v[56:59], a[128:129], a[88:89], v[56:59]// 000000005100: D3E10038 1CE2B180
	s_add_u32 m0, 0xc00, s46                                   // 000000005108: 807C2EFF 00000C00
	buffer_load_dword v33, s[4:7], 0 offen lds                 // 000000005110: E0511000 80010021
	ds_read_b128 a[48:51], v37 offset:19584                    // 000000005118: DBFE4C80 30000025
	ds_read_b128 a[52:55], v37 offset:19648                    // 000000005120: DBFE4CC0 34000025
	v_mfma_f32_16x16x16_bf16 v[56:59], a[130:131], a[90:91], v[56:59]// 000000005128: D3E10038 1CE2B582
	s_add_u32 m0, 0xd00, s46                                   // 000000005130: 807C2EFF 00000D00
	buffer_load_dword v34, s[4:7], 0 offen lds                 // 000000005138: E0511000 80010022
	v_mfma_f32_16x16x16_bf16 v[56:59], a[132:133], a[92:93], v[56:59]// 000000005140: D3E10038 1CE2B984
	s_add_u32 m0, 0xe00, s46                                   // 000000005148: 807C2EFF 00000E00
	buffer_load_dword v35, s[4:7], 0 offen lds                 // 000000005150: E0511000 80010023
	ds_read_b128 a[56:59], v37 offset:20096                    // 000000005158: DBFE4E80 38000025
	ds_read_b128 a[60:63], v37 offset:20160                    // 000000005160: DBFE4EC0 3C000025
	v_mfma_f32_16x16x16_bf16 v[56:59], a[134:135], a[94:95], v[56:59]// 000000005168: D3E10038 1CE2BD86
	s_add_u32 m0, 0xf00, s46                                   // 000000005170: 807C2EFF 00000F00
	buffer_load_dword v36, s[4:7], 0 offen lds                 // 000000005178: E0511000 80010024
	v_mfma_f32_16x16x16_bf16 v[60:63], a[128:129], a[96:97], v[60:63]// 000000005180: D3E1003C 1CF2C180
	s_add_u32 s31, 0x100, s33                                  // 000000005188: 801F21FF 00000100
	s_cmp_lt_u32 s31, s34                                      // 000000005190: BF0A221F
	s_cselect_b32 s44, s44, 0                                  // 000000005194: 852C802C
	buffer_load_dwordx4 a[144:147], v38, s[8:11], 0 offen      // 000000005198: E05C1000 80829026
	s_add_u32 s4, s44, s4                                      // 0000000051A0: 8004042C
	s_addc_u32 s5, 0, s5                                       // 0000000051A4: 82050580
	v_mfma_f32_16x16x16_bf16 v[60:63], a[130:131], a[98:99], v[60:63]// 0000000051A8: D3E1003C 1CF2C582
	buffer_load_dwordx4 a[148:151], v39, s[8:11], 0 offen      // 0000000051B0: E05C1000 80829427
	v_mfma_f32_16x16x16_bf16 v[60:63], a[132:133], a[100:101], v[60:63]// 0000000051B8: D3E1003C 1CF2C984
	s_add_u32 s31, 0xc0, s33                                   // 0000000051C0: 801F21FF 000000C0
	s_cmp_lt_u32 s31, s34                                      // 0000000051C8: BF0A221F
	s_cselect_b32 s45, s45, 0                                  // 0000000051CC: 852D802D
	s_add_u32 s8, s45, s8                                      // 0000000051D0: 8008082D
	s_addc_u32 s9, 0, s9                                       // 0000000051D4: 82090980
	v_mfma_f32_16x16x16_bf16 v[60:63], a[134:135], a[102:103], v[60:63]// 0000000051D8: D3E1003C 1CF2CD86
	v_mfma_f32_16x16x16_bf16 v[64:67], a[128:129], a[104:105], v[64:67]// 0000000051E0: D3E10040 1D02D180
	v_mfma_f32_16x16x16_bf16 v[64:67], a[130:131], a[106:107], v[64:67]// 0000000051E8: D3E10040 1D02D582
	v_mfma_f32_16x16x16_bf16 v[64:67], a[132:133], a[108:109], v[64:67]// 0000000051F0: D3E10040 1D02D984
	v_mfma_f32_16x16x16_bf16 v[64:67], a[134:135], a[110:111], v[64:67]// 0000000051F8: D3E10040 1D02DD86
	v_mfma_f32_16x16x16_bf16 v[68:71], a[128:129], a[112:113], v[68:71]// 000000005200: D3E10044 1D12E180
	v_mfma_f32_16x16x16_bf16 v[68:71], a[130:131], a[114:115], v[68:71]// 000000005208: D3E10044 1D12E582
	v_mfma_f32_16x16x16_bf16 v[68:71], a[132:133], a[116:117], v[68:71]// 000000005210: D3E10044 1D12E984
	v_mfma_f32_16x16x16_bf16 v[68:71], a[134:135], a[118:119], v[68:71]// 000000005218: D3E10044 1D12ED86
	v_mfma_f32_16x16x16_bf16 v[72:75], a[128:129], a[120:121], v[72:75]// 000000005220: D3E10048 1D22F180
	v_mfma_f32_16x16x16_bf16 v[72:75], a[130:131], a[122:123], v[72:75]// 000000005228: D3E10048 1D22F582
	v_mfma_f32_16x16x16_bf16 v[72:75], a[132:133], a[124:125], v[72:75]// 000000005230: D3E10048 1D22F984
	v_mfma_f32_16x16x16_bf16 v[72:75], a[134:135], a[126:127], v[72:75]// 000000005238: D3E10048 1D22FD86
	s_addk_i32 s33, 0x40                                       // 000000005240: B7210040
	s_cmp_lt_i32 s33, s34                                      // 000000005244: BF042221
	s_cbranch_scc0 label_0B7C                                  // 000000005248: BF840169
	s_waitcnt vmcnt(18) lgkmcnt(0)                             // 00000000524C: BF8C4072
	s_barrier                                                  // 000000005250: BF8A0000
	v_mfma_f32_16x16x16_bf16 v[44:47], a[136:137], a[0:1], v[44:47]// 000000005254: D3E1002C 1CB20188
	s_add_u32 m0, 0, s47                                       // 00000000525C: 807C2F80
	buffer_load_dword v21, s[4:7], 0 offen lds                 // 000000005260: E0511000 80010015
	ds_read_b128 a[64:67], v37 offset:33024                    // 000000005268: DBFE8100 40000025
	ds_read_b128 a[68:71], v37 offset:33088                    // 000000005270: DBFE8140 44000025
	v_mfma_f32_16x16x16_bf16 v[44:47], a[138:139], a[2:3], v[44:47]// 000000005278: D3E1002C 1CB2058A
	s_add_u32 m0, 0x100, s47                                   // 000000005280: 807C2FFF 00000100
	buffer_load_dword v22, s[4:7], 0 offen lds                 // 000000005288: E0511000 80010016
	v_mfma_f32_16x16x16_bf16 v[44:47], a[140:141], a[4:5], v[44:47]// 000000005290: D3E1002C 1CB2098C
	s_add_u32 m0, 0x200, s47                                   // 000000005298: 807C2FFF 00000200
	buffer_load_dword v23, s[4:7], 0 offen lds                 // 0000000052A0: E0511000 80010017
	ds_read_b128 a[72:75], v37 offset:33536                    // 0000000052A8: DBFE8300 48000025
	ds_read_b128 a[76:79], v37 offset:33600                    // 0000000052B0: DBFE8340 4C000025
	v_mfma_f32_16x16x16_bf16 v[44:47], a[142:143], a[6:7], v[44:47]// 0000000052B8: D3E1002C 1CB20D8E
	s_add_u32 m0, 0x300, s47                                   // 0000000052C0: 807C2FFF 00000300
	buffer_load_dword v24, s[4:7], 0 offen lds                 // 0000000052C8: E0511000 80010018
	v_mfma_f32_16x16x16_bf16 v[48:51], a[136:137], a[8:9], v[48:51]// 0000000052D0: D3E10030 1CC21188
	s_add_u32 m0, 0x400, s47                                   // 0000000052D8: 807C2FFF 00000400
	buffer_load_dword v25, s[4:7], 0 offen lds                 // 0000000052E0: E0511000 80010019
	ds_read_b128 a[80:83], v37 offset:34048                    // 0000000052E8: DBFE8500 50000025
	ds_read_b128 a[84:87], v37 offset:34112                    // 0000000052F0: DBFE8540 54000025
	v_mfma_f32_16x16x16_bf16 v[48:51], a[138:139], a[10:11], v[48:51]// 0000000052F8: D3E10030 1CC2158A
	s_add_u32 m0, 0x500, s47                                   // 000000005300: 807C2FFF 00000500
	buffer_load_dword v26, s[4:7], 0 offen lds                 // 000000005308: E0511000 8001001A
	v_mfma_f32_16x16x16_bf16 v[48:51], a[140:141], a[12:13], v[48:51]// 000000005310: D3E10030 1CC2198C
	s_add_u32 m0, 0x600, s47                                   // 000000005318: 807C2FFF 00000600
	buffer_load_dword v27, s[4:7], 0 offen lds                 // 000000005320: E0511000 8001001B
	ds_read_b128 a[88:91], v37 offset:34560                    // 000000005328: DBFE8700 58000025
	ds_read_b128 a[92:95], v37 offset:34624                    // 000000005330: DBFE8740 5C000025
	v_mfma_f32_16x16x16_bf16 v[48:51], a[142:143], a[14:15], v[48:51]// 000000005338: D3E10030 1CC21D8E
	s_add_u32 m0, 0x700, s47                                   // 000000005340: 807C2FFF 00000700
	buffer_load_dword v28, s[4:7], 0 offen lds                 // 000000005348: E0511000 8001001C
	v_mfma_f32_16x16x16_bf16 v[52:55], a[136:137], a[16:17], v[52:55]// 000000005350: D3E10034 1CD22188
	s_add_u32 m0, 0x800, s47                                   // 000000005358: 807C2FFF 00000800
	buffer_load_dword v29, s[4:7], 0 offen lds                 // 000000005360: E0511000 8001001D
	ds_read_b128 a[96:99], v37 offset:35072                    // 000000005368: DBFE8900 60000025
	ds_read_b128 a[100:103], v37 offset:35136                  // 000000005370: DBFE8940 64000025
	v_mfma_f32_16x16x16_bf16 v[52:55], a[138:139], a[18:19], v[52:55]// 000000005378: D3E10034 1CD2258A
	s_add_u32 m0, 0x900, s47                                   // 000000005380: 807C2FFF 00000900
	buffer_load_dword v30, s[4:7], 0 offen lds                 // 000000005388: E0511000 8001001E
	v_mfma_f32_16x16x16_bf16 v[52:55], a[140:141], a[20:21], v[52:55]// 000000005390: D3E10034 1CD2298C
	s_add_u32 m0, 0xa00, s47                                   // 000000005398: 807C2FFF 00000A00
	buffer_load_dword v31, s[4:7], 0 offen lds                 // 0000000053A0: E0511000 8001001F
	ds_read_b128 a[104:107], v37 offset:35584                  // 0000000053A8: DBFE8B00 68000025
	ds_read_b128 a[108:111], v37 offset:35648                  // 0000000053B0: DBFE8B40 6C000025
	v_mfma_f32_16x16x16_bf16 v[52:55], a[142:143], a[22:23], v[52:55]// 0000000053B8: D3E10034 1CD22D8E
	s_add_u32 m0, 0xb00, s47                                   // 0000000053C0: 807C2FFF 00000B00
	buffer_load_dword v32, s[4:7], 0 offen lds                 // 0000000053C8: E0511000 80010020
	v_mfma_f32_16x16x16_bf16 v[56:59], a[136:137], a[24:25], v[56:59]// 0000000053D0: D3E10038 1CE23188
	s_add_u32 m0, 0xc00, s47                                   // 0000000053D8: 807C2FFF 00000C00
	buffer_load_dword v33, s[4:7], 0 offen lds                 // 0000000053E0: E0511000 80010021
	ds_read_b128 a[112:115], v37 offset:36096                  // 0000000053E8: DBFE8D00 70000025
	ds_read_b128 a[116:119], v37 offset:36160                  // 0000000053F0: DBFE8D40 74000025
	v_mfma_f32_16x16x16_bf16 v[56:59], a[138:139], a[26:27], v[56:59]// 0000000053F8: D3E10038 1CE2358A
	s_add_u32 m0, 0xd00, s47                                   // 000000005400: 807C2FFF 00000D00
	buffer_load_dword v34, s[4:7], 0 offen lds                 // 000000005408: E0511000 80010022
	v_mfma_f32_16x16x16_bf16 v[56:59], a[140:141], a[28:29], v[56:59]// 000000005410: D3E10038 1CE2398C
	s_add_u32 m0, 0xe00, s47                                   // 000000005418: 807C2FFF 00000E00
	buffer_load_dword v35, s[4:7], 0 offen lds                 // 000000005420: E0511000 80010023
	ds_read_b128 a[120:123], v37 offset:36608                  // 000000005428: DBFE8F00 78000025
	ds_read_b128 a[124:127], v37 offset:36672                  // 000000005430: DBFE8F40 7C000025
	v_mfma_f32_16x16x16_bf16 v[56:59], a[142:143], a[30:31], v[56:59]// 000000005438: D3E10038 1CE23D8E
	s_add_u32 m0, 0xf00, s47                                   // 000000005440: 807C2FFF 00000F00
	buffer_load_dword v36, s[4:7], 0 offen lds                 // 000000005448: E0511000 80010024
	v_mfma_f32_16x16x16_bf16 v[60:63], a[136:137], a[32:33], v[60:63]// 000000005450: D3E1003C 1CF24188
	s_add_u32 s31, 0x100, s33                                  // 000000005458: 801F21FF 00000100
	s_cmp_lt_u32 s31, s34                                      // 000000005460: BF0A221F
	s_cselect_b32 s44, s44, 0                                  // 000000005464: 852C802C
	buffer_load_dwordx4 a[128:131], v38, s[8:11], 0 offen      // 000000005468: E05C1000 80828026
	s_add_u32 s4, s44, s4                                      // 000000005470: 8004042C
	s_addc_u32 s5, 0, s5                                       // 000000005474: 82050580
	v_mfma_f32_16x16x16_bf16 v[60:63], a[138:139], a[34:35], v[60:63]// 000000005478: D3E1003C 1CF2458A
	buffer_load_dwordx4 a[132:135], v39, s[8:11], 0 offen      // 000000005480: E05C1000 80828427
	v_mfma_f32_16x16x16_bf16 v[60:63], a[140:141], a[36:37], v[60:63]// 000000005488: D3E1003C 1CF2498C
	s_add_u32 s31, 0xc0, s33                                   // 000000005490: 801F21FF 000000C0
	s_cmp_lt_u32 s31, s34                                      // 000000005498: BF0A221F
	s_cselect_b32 s45, s45, 0                                  // 00000000549C: 852D802D
	s_add_u32 s8, s45, s8                                      // 0000000054A0: 8008082D
	s_addc_u32 s9, 0, s9                                       // 0000000054A4: 82090980
	v_mfma_f32_16x16x16_bf16 v[60:63], a[142:143], a[38:39], v[60:63]// 0000000054A8: D3E1003C 1CF24D8E
	v_mfma_f32_16x16x16_bf16 v[64:67], a[136:137], a[40:41], v[64:67]// 0000000054B0: D3E10040 1D025188
	v_mfma_f32_16x16x16_bf16 v[64:67], a[138:139], a[42:43], v[64:67]// 0000000054B8: D3E10040 1D02558A
	v_mfma_f32_16x16x16_bf16 v[64:67], a[140:141], a[44:45], v[64:67]// 0000000054C0: D3E10040 1D02598C
	v_mfma_f32_16x16x16_bf16 v[64:67], a[142:143], a[46:47], v[64:67]// 0000000054C8: D3E10040 1D025D8E
	v_mfma_f32_16x16x16_bf16 v[68:71], a[136:137], a[48:49], v[68:71]// 0000000054D0: D3E10044 1D126188
	v_mfma_f32_16x16x16_bf16 v[68:71], a[138:139], a[50:51], v[68:71]// 0000000054D8: D3E10044 1D12658A
	v_mfma_f32_16x16x16_bf16 v[68:71], a[140:141], a[52:53], v[68:71]// 0000000054E0: D3E10044 1D12698C
	v_mfma_f32_16x16x16_bf16 v[68:71], a[142:143], a[54:55], v[68:71]// 0000000054E8: D3E10044 1D126D8E
	v_mfma_f32_16x16x16_bf16 v[72:75], a[136:137], a[56:57], v[72:75]// 0000000054F0: D3E10048 1D227188
	v_mfma_f32_16x16x16_bf16 v[72:75], a[138:139], a[58:59], v[72:75]// 0000000054F8: D3E10048 1D22758A
	v_mfma_f32_16x16x16_bf16 v[72:75], a[140:141], a[60:61], v[72:75]// 000000005500: D3E10048 1D22798C
	v_mfma_f32_16x16x16_bf16 v[72:75], a[142:143], a[62:63], v[72:75]// 000000005508: D3E10048 1D227D8E
	s_addk_i32 s33, 0x40                                       // 000000005510: B7210040
	s_cmp_lt_i32 s33, s34                                      // 000000005514: BF042221
	s_cbranch_scc0 label_0B7C                                  // 000000005518: BF8400B5
	s_waitcnt vmcnt(18) lgkmcnt(0)                             // 00000000551C: BF8C4072
	s_barrier                                                  // 000000005520: BF8A0000
	v_mfma_f32_16x16x16_bf16 v[44:47], a[144:145], a[64:65], v[44:47]// 000000005524: D3E1002C 1CB28190
	s_add_u32 m0, 0, s48                                       // 00000000552C: 807C3080
	buffer_load_dword v21, s[4:7], 0 offen lds                 // 000000005530: E0511000 80010015
	ds_read_b128 a[0:3], v37                                   // 000000005538: DBFE0000 00000025
	ds_read_b128 a[4:7], v37 offset:64                         // 000000005540: DBFE0040 04000025
	v_mfma_f32_16x16x16_bf16 v[44:47], a[146:147], a[66:67], v[44:47]// 000000005548: D3E1002C 1CB28592
	s_add_u32 m0, 0x100, s48                                   // 000000005550: 807C30FF 00000100
	buffer_load_dword v22, s[4:7], 0 offen lds                 // 000000005558: E0511000 80010016
	v_mfma_f32_16x16x16_bf16 v[44:47], a[148:149], a[68:69], v[44:47]// 000000005560: D3E1002C 1CB28994
	s_add_u32 m0, 0x200, s48                                   // 000000005568: 807C30FF 00000200
	buffer_load_dword v23, s[4:7], 0 offen lds                 // 000000005570: E0511000 80010017
	ds_read_b128 a[8:11], v37 offset:512                       // 000000005578: DBFE0200 08000025
	ds_read_b128 a[12:15], v37 offset:576                      // 000000005580: DBFE0240 0C000025
	v_mfma_f32_16x16x16_bf16 v[44:47], a[150:151], a[70:71], v[44:47]// 000000005588: D3E1002C 1CB28D96
	s_add_u32 m0, 0x300, s48                                   // 000000005590: 807C30FF 00000300
	buffer_load_dword v24, s[4:7], 0 offen lds                 // 000000005598: E0511000 80010018
	v_mfma_f32_16x16x16_bf16 v[48:51], a[144:145], a[72:73], v[48:51]// 0000000055A0: D3E10030 1CC29190
	s_add_u32 m0, 0x400, s48                                   // 0000000055A8: 807C30FF 00000400
	buffer_load_dword v25, s[4:7], 0 offen lds                 // 0000000055B0: E0511000 80010019
	ds_read_b128 a[16:19], v37 offset:1024                     // 0000000055B8: DBFE0400 10000025
	ds_read_b128 a[20:23], v37 offset:1088                     // 0000000055C0: DBFE0440 14000025
	v_mfma_f32_16x16x16_bf16 v[48:51], a[146:147], a[74:75], v[48:51]// 0000000055C8: D3E10030 1CC29592
	s_add_u32 m0, 0x500, s48                                   // 0000000055D0: 807C30FF 00000500
	buffer_load_dword v26, s[4:7], 0 offen lds                 // 0000000055D8: E0511000 8001001A
	v_mfma_f32_16x16x16_bf16 v[48:51], a[148:149], a[76:77], v[48:51]// 0000000055E0: D3E10030 1CC29994
	s_add_u32 m0, 0x600, s48                                   // 0000000055E8: 807C30FF 00000600
	buffer_load_dword v27, s[4:7], 0 offen lds                 // 0000000055F0: E0511000 8001001B
	ds_read_b128 a[24:27], v37 offset:1536                     // 0000000055F8: DBFE0600 18000025
	ds_read_b128 a[28:31], v37 offset:1600                     // 000000005600: DBFE0640 1C000025
	v_mfma_f32_16x16x16_bf16 v[48:51], a[150:151], a[78:79], v[48:51]// 000000005608: D3E10030 1CC29D96
	s_add_u32 m0, 0x700, s48                                   // 000000005610: 807C30FF 00000700
	buffer_load_dword v28, s[4:7], 0 offen lds                 // 000000005618: E0511000 8001001C
	v_mfma_f32_16x16x16_bf16 v[52:55], a[144:145], a[80:81], v[52:55]// 000000005620: D3E10034 1CD2A190
	s_add_u32 m0, 0x800, s48                                   // 000000005628: 807C30FF 00000800
	buffer_load_dword v29, s[4:7], 0 offen lds                 // 000000005630: E0511000 8001001D
	ds_read_b128 a[32:35], v37 offset:2048                     // 000000005638: DBFE0800 20000025
	ds_read_b128 a[36:39], v37 offset:2112                     // 000000005640: DBFE0840 24000025
	v_mfma_f32_16x16x16_bf16 v[52:55], a[146:147], a[82:83], v[52:55]// 000000005648: D3E10034 1CD2A592
	s_add_u32 m0, 0x900, s48                                   // 000000005650: 807C30FF 00000900
	buffer_load_dword v30, s[4:7], 0 offen lds                 // 000000005658: E0511000 8001001E
	v_mfma_f32_16x16x16_bf16 v[52:55], a[148:149], a[84:85], v[52:55]// 000000005660: D3E10034 1CD2A994
	s_add_u32 m0, 0xa00, s48                                   // 000000005668: 807C30FF 00000A00
	buffer_load_dword v31, s[4:7], 0 offen lds                 // 000000005670: E0511000 8001001F
	ds_read_b128 a[40:43], v37 offset:2560                     // 000000005678: DBFE0A00 28000025
	ds_read_b128 a[44:47], v37 offset:2624                     // 000000005680: DBFE0A40 2C000025
	v_mfma_f32_16x16x16_bf16 v[52:55], a[150:151], a[86:87], v[52:55]// 000000005688: D3E10034 1CD2AD96
	s_add_u32 m0, 0xb00, s48                                   // 000000005690: 807C30FF 00000B00
	buffer_load_dword v32, s[4:7], 0 offen lds                 // 000000005698: E0511000 80010020
	v_mfma_f32_16x16x16_bf16 v[56:59], a[144:145], a[88:89], v[56:59]// 0000000056A0: D3E10038 1CE2B190
	s_add_u32 m0, 0xc00, s48                                   // 0000000056A8: 807C30FF 00000C00
	buffer_load_dword v33, s[4:7], 0 offen lds                 // 0000000056B0: E0511000 80010021
	ds_read_b128 a[48:51], v37 offset:3072                     // 0000000056B8: DBFE0C00 30000025
	ds_read_b128 a[52:55], v37 offset:3136                     // 0000000056C0: DBFE0C40 34000025
	v_mfma_f32_16x16x16_bf16 v[56:59], a[146:147], a[90:91], v[56:59]// 0000000056C8: D3E10038 1CE2B592
	s_add_u32 m0, 0xd00, s48                                   // 0000000056D0: 807C30FF 00000D00
	buffer_load_dword v34, s[4:7], 0 offen lds                 // 0000000056D8: E0511000 80010022
	v_mfma_f32_16x16x16_bf16 v[56:59], a[148:149], a[92:93], v[56:59]// 0000000056E0: D3E10038 1CE2B994
	s_add_u32 m0, 0xe00, s48                                   // 0000000056E8: 807C30FF 00000E00
	buffer_load_dword v35, s[4:7], 0 offen lds                 // 0000000056F0: E0511000 80010023
	ds_read_b128 a[56:59], v37 offset:3584                     // 0000000056F8: DBFE0E00 38000025
	ds_read_b128 a[60:63], v37 offset:3648                     // 000000005700: DBFE0E40 3C000025
	v_mfma_f32_16x16x16_bf16 v[56:59], a[150:151], a[94:95], v[56:59]// 000000005708: D3E10038 1CE2BD96
	s_add_u32 m0, 0xf00, s48                                   // 000000005710: 807C30FF 00000F00
	buffer_load_dword v36, s[4:7], 0 offen lds                 // 000000005718: E0511000 80010024
	v_mfma_f32_16x16x16_bf16 v[60:63], a[144:145], a[96:97], v[60:63]// 000000005720: D3E1003C 1CF2C190
	s_add_u32 s31, 0x100, s33                                  // 000000005728: 801F21FF 00000100
	s_cmp_lt_u32 s31, s34                                      // 000000005730: BF0A221F
	s_cselect_b32 s44, s44, 0                                  // 000000005734: 852C802C
	buffer_load_dwordx4 a[136:139], v38, s[8:11], 0 offen      // 000000005738: E05C1000 80828826
	s_add_u32 s4, s44, s4                                      // 000000005740: 8004042C
	s_addc_u32 s5, 0, s5                                       // 000000005744: 82050580
	v_mfma_f32_16x16x16_bf16 v[60:63], a[146:147], a[98:99], v[60:63]// 000000005748: D3E1003C 1CF2C592
	buffer_load_dwordx4 a[140:143], v39, s[8:11], 0 offen      // 000000005750: E05C1000 80828C27
	v_mfma_f32_16x16x16_bf16 v[60:63], a[148:149], a[100:101], v[60:63]// 000000005758: D3E1003C 1CF2C994
	s_add_u32 s31, 0xc0, s33                                   // 000000005760: 801F21FF 000000C0
	s_cmp_lt_u32 s31, s34                                      // 000000005768: BF0A221F
	s_cselect_b32 s45, s45, 0                                  // 00000000576C: 852D802D
	s_add_u32 s8, s45, s8                                      // 000000005770: 8008082D
	s_addc_u32 s9, 0, s9                                       // 000000005774: 82090980
	v_mfma_f32_16x16x16_bf16 v[60:63], a[150:151], a[102:103], v[60:63]// 000000005778: D3E1003C 1CF2CD96
	v_mfma_f32_16x16x16_bf16 v[64:67], a[144:145], a[104:105], v[64:67]// 000000005780: D3E10040 1D02D190
	v_mfma_f32_16x16x16_bf16 v[64:67], a[146:147], a[106:107], v[64:67]// 000000005788: D3E10040 1D02D592
	v_mfma_f32_16x16x16_bf16 v[64:67], a[148:149], a[108:109], v[64:67]// 000000005790: D3E10040 1D02D994
	v_mfma_f32_16x16x16_bf16 v[64:67], a[150:151], a[110:111], v[64:67]// 000000005798: D3E10040 1D02DD96
	v_mfma_f32_16x16x16_bf16 v[68:71], a[144:145], a[112:113], v[68:71]// 0000000057A0: D3E10044 1D12E190
	v_mfma_f32_16x16x16_bf16 v[68:71], a[146:147], a[114:115], v[68:71]// 0000000057A8: D3E10044 1D12E592
	v_mfma_f32_16x16x16_bf16 v[68:71], a[148:149], a[116:117], v[68:71]// 0000000057B0: D3E10044 1D12E994
	v_mfma_f32_16x16x16_bf16 v[68:71], a[150:151], a[118:119], v[68:71]// 0000000057B8: D3E10044 1D12ED96
	v_mfma_f32_16x16x16_bf16 v[72:75], a[144:145], a[120:121], v[72:75]// 0000000057C0: D3E10048 1D22F190
	v_mfma_f32_16x16x16_bf16 v[72:75], a[146:147], a[122:123], v[72:75]// 0000000057C8: D3E10048 1D22F592
	v_mfma_f32_16x16x16_bf16 v[72:75], a[148:149], a[124:125], v[72:75]// 0000000057D0: D3E10048 1D22F994
	v_mfma_f32_16x16x16_bf16 v[72:75], a[150:151], a[126:127], v[72:75]// 0000000057D8: D3E10048 1D22FD96
	s_addk_i32 s33, 0x40                                       // 0000000057E0: B7210040
	s_cmp_lt_i32 s33, s34                                      // 0000000057E4: BF042221
	s_cbranch_scc0 label_0B7C                                  // 0000000057E8: BF840001
	s_branch label_0743                                        // 0000000057EC: BF82FBC7

00000000000057f0 <label_0B7C>:
	s_cmp_le_u32 s52, 1                                        // 0000000057F0: BF0B8134
	s_cbranch_scc1 label_11F0                                  // 0000000057F4: BF850672
	s_mov_b32 s31, 0x80                                        // 0000000057F8: BE9F00FF 00000080
	s_cmp_lt_u32 s55, s31                                      // 000000005800: BF0A1F37
	s_cbranch_scc1 label_0DFB                                  // 000000005804: BF850279
	v_mov_b32_e32 v5, 0                                        // 000000005808: 7E0A0280
	s_and_b32 s17, s17, 0xffff                                 // 00000000580C: 8611FF11 0000FFFF
	s_cmp_lt_u32 s54, 1                                        // 000000005814: BF0A8136
	s_cbranch_scc0 label_0C80                                  // 000000005818: BF8400F9
	v_lshrrev_b32_e32 v4, 4, v0                                // 00000000581C: 20080084
	v_mul_u32_u24_e32 v37, 0x44, v4                            // 000000005820: 104A08FF 00000044
	v_and_b32_e32 v4, 15, v0                                   // 000000005828: 2608008F
	v_mul_lo_u32 v5, 4, v4                                     // 00000000582C: D2850005 00020884
	v_add_u32_e32 v37, v5, v37                                 // 000000005834: 684A4B05
	s_mul_i32 s31, s24, 0x110                                  // 000000005838: 921FFF18 00000110
	v_add_u32_e32 v37, s31, v37                                // 000000005840: 684A4A1F
	v_lshlrev_b32_e32 v37, 2, v37                              // 000000005844: 244A4A82
	v_lshrrev_b32_e32 v4, 2, v0                                // 000000005848: 20080082
	v_mul_u32_u24_e32 v40, 0x44, v4                            // 00000000584C: 105008FF 00000044
	v_and_b32_e32 v4, 3, v0                                    // 000000005854: 26080083
	v_add_u32_e32 v40, v4, v40                                 // 000000005858: 68505104
	s_mul_i32 s31, s24, 4                                      // 00000000585C: 921F8418
	v_add_u32_e32 v40, s31, v40                                // 000000005860: 6850501F
	v_lshlrev_b32_e32 v40, 2, v40                              // 000000005864: 24505082
	s_waitcnt vmcnt(0) expcnt(0) lgkmcnt(0)                    // 000000005868: BF8C0000
	s_barrier                                                  // 00000000586C: BF8A0000
	ds_write_b128 v37, v[44:47]                                // 000000005870: D9BE0000 00002C25
	ds_write_b128 v37, v[48:51] offset:4352                    // 000000005878: D9BE1100 00003025
	ds_write_b128 v37, v[52:55] offset:8704                    // 000000005880: D9BE2200 00003425
	ds_write_b128 v37, v[56:59] offset:13056                   // 000000005888: D9BE3300 00003825
	ds_write_b128 v37, v[60:63] offset:17408                   // 000000005890: D9BE4400 00003C25
	ds_write_b128 v37, v[64:67] offset:21760                   // 000000005898: D9BE5500 00004025
	ds_write_b128 v37, v[68:71] offset:26112                   // 0000000058A0: D9BE6600 00004425
	ds_write_b128 v37, v[72:75] offset:30464                   // 0000000058A8: D9BE7700 00004825
	s_waitcnt lgkmcnt(0)                                       // 0000000058B0: BF8CC07F
	s_barrier                                                  // 0000000058B4: BF8A0000
	ds_read_b32 v44, v40                                       // 0000000058B8: D86C0000 2C000028
	ds_read_b32 v45, v40 offset:64                             // 0000000058C0: D86C0040 2D000028
	ds_read_b32 v46, v40 offset:128                            // 0000000058C8: D86C0080 2E000028
	ds_read_b32 v47, v40 offset:192                            // 0000000058D0: D86C00C0 2F000028
	ds_read_b32 v48, v40 offset:4352                           // 0000000058D8: D86C1100 30000028
	ds_read_b32 v49, v40 offset:4416                           // 0000000058E0: D86C1140 31000028
	ds_read_b32 v50, v40 offset:4480                           // 0000000058E8: D86C1180 32000028
	ds_read_b32 v51, v40 offset:4544                           // 0000000058F0: D86C11C0 33000028
	ds_read_b32 v52, v40 offset:8704                           // 0000000058F8: D86C2200 34000028
	ds_read_b32 v53, v40 offset:8768                           // 000000005900: D86C2240 35000028
	ds_read_b32 v54, v40 offset:8832                           // 000000005908: D86C2280 36000028
	ds_read_b32 v55, v40 offset:8896                           // 000000005910: D86C22C0 37000028
	ds_read_b32 v56, v40 offset:13056                          // 000000005918: D86C3300 38000028
	ds_read_b32 v57, v40 offset:13120                          // 000000005920: D86C3340 39000028
	ds_read_b32 v58, v40 offset:13184                          // 000000005928: D86C3380 3A000028
	ds_read_b32 v59, v40 offset:13248                          // 000000005930: D86C33C0 3B000028
	ds_read_b32 v60, v40 offset:17408                          // 000000005938: D86C4400 3C000028
	ds_read_b32 v61, v40 offset:17472                          // 000000005940: D86C4440 3D000028
	ds_read_b32 v62, v40 offset:17536                          // 000000005948: D86C4480 3E000028
	ds_read_b32 v63, v40 offset:17600                          // 000000005950: D86C44C0 3F000028
	ds_read_b32 v64, v40 offset:21760                          // 000000005958: D86C5500 40000028
	ds_read_b32 v65, v40 offset:21824                          // 000000005960: D86C5540 41000028
	ds_read_b32 v66, v40 offset:21888                          // 000000005968: D86C5580 42000028
	ds_read_b32 v67, v40 offset:21952                          // 000000005970: D86C55C0 43000028
	ds_read_b32 v68, v40 offset:26112                          // 000000005978: D86C6600 44000028
	ds_read_b32 v69, v40 offset:26176                          // 000000005980: D86C6640 45000028
	ds_read_b32 v70, v40 offset:26240                          // 000000005988: D86C6680 46000028
	ds_read_b32 v71, v40 offset:26304                          // 000000005990: D86C66C0 47000028
	ds_read_b32 v72, v40 offset:30464                          // 000000005998: D86C7700 48000028
	ds_read_b32 v73, v40 offset:30528                          // 0000000059A0: D86C7740 49000028
	ds_read_b32 v74, v40 offset:30592                          // 0000000059A8: D86C7780 4A000028
	ds_read_b32 v75, v40 offset:30656                          // 0000000059B0: D86C77C0 4B000028
	s_waitcnt lgkmcnt(0)                                       // 0000000059B8: BF8CC07F
	s_cmp_eq_u32 s24, 0                                        // 0000000059BC: BF068018
	s_cbranch_scc0 label_0BF7                                  // 0000000059C0: BF840006
	s_mov_b32 s31, 0                                           // 0000000059C4: BE9F0080

00000000000059c8 <label_0BF2>:
	s_load_dword s32, s[40:41], s62 glc                        // 0000000059C8: C0010814 0000003E
	s_waitcnt lgkmcnt(0)                                       // 0000000059D0: BF8CC07F
	s_cmp_gt_u32 s32, s31                                      // 0000000059D4: BF081F20
	s_cbranch_scc0 label_0BF2                                  // 0000000059D8: BF84FFFB

00000000000059dc <label_0BF7>:
	s_barrier                                                  // 0000000059DC: BF8A0000
	s_mul_i32 s31, s30, 4                                      // 0000000059E0: 921F841E
	v_mov_b32_e32 v4, v20                                      // 0000000059E4: 7E080314
	global_atomic_add_f32 v4, v44, s[16:17]                    // 0000000059E8: DD348000 00102C04
	v_add_u32_e64 v4, v4, s31                                  // 0000000059F0: D1340004 00003F04
	global_atomic_add_f32 v4, v45, s[16:17]                    // 0000000059F8: DD348000 00102D04
	v_add_u32_e64 v4, v4, s31                                  // 000000005A00: D1340004 00003F04
	global_atomic_add_f32 v4, v46, s[16:17]                    // 000000005A08: DD348000 00102E04
	v_add_u32_e64 v4, v4, s31                                  // 000000005A10: D1340004 00003F04
	global_atomic_add_f32 v4, v47, s[16:17]                    // 000000005A18: DD348000 00102F04
	v_add_u32_e64 v4, v4, s31                                  // 000000005A20: D1340004 00003F04
	global_atomic_add_f32 v4, v48, s[16:17]                    // 000000005A28: DD348000 00103004
	v_add_u32_e64 v4, v4, s31                                  // 000000005A30: D1340004 00003F04
	global_atomic_add_f32 v4, v49, s[16:17]                    // 000000005A38: DD348000 00103104
	v_add_u32_e64 v4, v4, s31                                  // 000000005A40: D1340004 00003F04
	global_atomic_add_f32 v4, v50, s[16:17]                    // 000000005A48: DD348000 00103204
	v_add_u32_e64 v4, v4, s31                                  // 000000005A50: D1340004 00003F04
	global_atomic_add_f32 v4, v51, s[16:17]                    // 000000005A58: DD348000 00103304
	v_add_u32_e64 v4, v4, s31                                  // 000000005A60: D1340004 00003F04
	global_atomic_add_f32 v4, v52, s[16:17]                    // 000000005A68: DD348000 00103404
	v_add_u32_e64 v4, v4, s31                                  // 000000005A70: D1340004 00003F04
	global_atomic_add_f32 v4, v53, s[16:17]                    // 000000005A78: DD348000 00103504
	v_add_u32_e64 v4, v4, s31                                  // 000000005A80: D1340004 00003F04
	global_atomic_add_f32 v4, v54, s[16:17]                    // 000000005A88: DD348000 00103604
	v_add_u32_e64 v4, v4, s31                                  // 000000005A90: D1340004 00003F04
	global_atomic_add_f32 v4, v55, s[16:17]                    // 000000005A98: DD348000 00103704
	v_add_u32_e64 v4, v4, s31                                  // 000000005AA0: D1340004 00003F04
	global_atomic_add_f32 v4, v56, s[16:17]                    // 000000005AA8: DD348000 00103804
	v_add_u32_e64 v4, v4, s31                                  // 000000005AB0: D1340004 00003F04
	global_atomic_add_f32 v4, v57, s[16:17]                    // 000000005AB8: DD348000 00103904
	v_add_u32_e64 v4, v4, s31                                  // 000000005AC0: D1340004 00003F04
	global_atomic_add_f32 v4, v58, s[16:17]                    // 000000005AC8: DD348000 00103A04
	v_add_u32_e64 v4, v4, s31                                  // 000000005AD0: D1340004 00003F04
	global_atomic_add_f32 v4, v59, s[16:17]                    // 000000005AD8: DD348000 00103B04
	v_add_u32_e64 v4, v4, s31                                  // 000000005AE0: D1340004 00003F04
	global_atomic_add_f32 v4, v60, s[16:17]                    // 000000005AE8: DD348000 00103C04
	v_add_u32_e64 v4, v4, s31                                  // 000000005AF0: D1340004 00003F04
	global_atomic_add_f32 v4, v61, s[16:17]                    // 000000005AF8: DD348000 00103D04
	v_add_u32_e64 v4, v4, s31                                  // 000000005B00: D1340004 00003F04
	global_atomic_add_f32 v4, v62, s[16:17]                    // 000000005B08: DD348000 00103E04
	v_add_u32_e64 v4, v4, s31                                  // 000000005B10: D1340004 00003F04
	global_atomic_add_f32 v4, v63, s[16:17]                    // 000000005B18: DD348000 00103F04
	v_add_u32_e64 v4, v4, s31                                  // 000000005B20: D1340004 00003F04
	global_atomic_add_f32 v4, v64, s[16:17]                    // 000000005B28: DD348000 00104004
	v_add_u32_e64 v4, v4, s31                                  // 000000005B30: D1340004 00003F04
	global_atomic_add_f32 v4, v65, s[16:17]                    // 000000005B38: DD348000 00104104
	v_add_u32_e64 v4, v4, s31                                  // 000000005B40: D1340004 00003F04
	global_atomic_add_f32 v4, v66, s[16:17]                    // 000000005B48: DD348000 00104204
	v_add_u32_e64 v4, v4, s31                                  // 000000005B50: D1340004 00003F04
	global_atomic_add_f32 v4, v67, s[16:17]                    // 000000005B58: DD348000 00104304
	v_add_u32_e64 v4, v4, s31                                  // 000000005B60: D1340004 00003F04
	global_atomic_add_f32 v4, v68, s[16:17]                    // 000000005B68: DD348000 00104404
	v_add_u32_e64 v4, v4, s31                                  // 000000005B70: D1340004 00003F04
	global_atomic_add_f32 v4, v69, s[16:17]                    // 000000005B78: DD348000 00104504
	v_add_u32_e64 v4, v4, s31                                  // 000000005B80: D1340004 00003F04
	global_atomic_add_f32 v4, v70, s[16:17]                    // 000000005B88: DD348000 00104604
	v_add_u32_e64 v4, v4, s31                                  // 000000005B90: D1340004 00003F04
	global_atomic_add_f32 v4, v71, s[16:17]                    // 000000005B98: DD348000 00104704
	v_add_u32_e64 v4, v4, s31                                  // 000000005BA0: D1340004 00003F04
	global_atomic_add_f32 v4, v72, s[16:17]                    // 000000005BA8: DD348000 00104804
	v_add_u32_e64 v4, v4, s31                                  // 000000005BB0: D1340004 00003F04
	global_atomic_add_f32 v4, v73, s[16:17]                    // 000000005BB8: DD348000 00104904
	v_add_u32_e64 v4, v4, s31                                  // 000000005BC0: D1340004 00003F04
	global_atomic_add_f32 v4, v74, s[16:17]                    // 000000005BC8: DD348000 00104A04
	v_add_u32_e64 v4, v4, s31                                  // 000000005BD0: D1340004 00003F04
	global_atomic_add_f32 v4, v75, s[16:17]                    // 000000005BD8: DD348000 00104B04
	v_add_u32_e64 v4, v4, s31                                  // 000000005BE0: D1340004 00003F04
	s_barrier                                                  // 000000005BE8: BF8A0000
	s_cmp_eq_u32 s24, 0                                        // 000000005BEC: BF068018
	s_cbranch_scc0 label_12F3                                  // 000000005BF0: BF840676
	s_atomic_dec s52, s[40:41], s62                            // 000000005BF4: C2300D14 0000003E
	s_branch label_12F3                                        // 000000005BFC: BF820673

0000000000005c00 <label_0C80>:
	v_lshrrev_b32_e32 v4, 4, v0                                // 000000005C00: 20080084
	v_mul_u32_u24_e32 v37, 34, v4                              // 000000005C04: 104A08A2
	v_and_b32_e32 v4, 15, v0                                   // 000000005C08: 2608008F
	v_mul_lo_u32 v5, 2, v4                                     // 000000005C0C: D2850005 00020882
	v_add_u32_e32 v37, v5, v37                                 // 000000005C14: 684A4B05
	s_mul_i32 s31, s24, 0x88                                   // 000000005C18: 921FFF18 00000088
	v_add_u32_e32 v37, s31, v37                                // 000000005C20: 684A4A1F
	v_lshlrev_b32_e32 v37, 2, v37                              // 000000005C24: 244A4A82
	v_and_b32_e32 v4, 31, v0                                   // 000000005C28: 2608009F
	v_lshrrev_b32_e32 v5, 1, v4                                // 000000005C2C: 200A0881
	v_mul_u32_u24_e32 v40, 34, v5                              // 000000005C30: 10500AA2
	v_and_b32_e32 v5, 1, v4                                    // 000000005C34: 260A0881
	v_add_u32_e32 v40, v5, v40                                 // 000000005C38: 68505105
	v_lshrrev_b32_e32 v4, 5, v0                                // 000000005C3C: 20080085
	v_mul_u32_u24_e32 v4, 8, v4                                // 000000005C40: 10080888
	v_add_u32_e32 v40, v4, v40                                 // 000000005C44: 68505104
	s_mul_i32 s31, s24, 2                                      // 000000005C48: 921F8218
	v_add_u32_e32 v40, s31, v40                                // 000000005C4C: 6850501F
	v_lshlrev_b32_e32 v40, 2, v40                              // 000000005C50: 24505082
	s_waitcnt vmcnt(0) expcnt(0) lgkmcnt(0)                    // 000000005C54: BF8C0000
	s_barrier                                                  // 000000005C58: BF8A0000
	v_cmp_u_f32_e64 s[60:61], v44, v44                         // 000000005C5C: D048003C 0002592C
	v_add3_u32 v8, v44, v11, 1                                 // 000000005C64: D1FF0008 0206172C
	v_cndmask_b32_e64 v4, v8, v10, s[60:61]                    // 000000005C6C: D1000004 00F21508
	v_cmp_u_f32_e64 s[60:61], v45, v45                         // 000000005C74: D048003C 00025B2D
	v_add3_u32 v8, v45, v11, 1                                 // 000000005C7C: D1FF0008 0206172D
	v_cndmask_b32_e64 v5, v8, v10, s[60:61]                    // 000000005C84: D1000005 00F21508
	v_perm_b32 v76, v5, v4, s35                                // 000000005C8C: D1ED004C 008E0905
	v_cmp_u_f32_e64 s[60:61], v46, v46                         // 000000005C94: D048003C 00025D2E
	v_add3_u32 v8, v46, v11, 1                                 // 000000005C9C: D1FF0008 0206172E
	v_cndmask_b32_e64 v4, v8, v10, s[60:61]                    // 000000005CA4: D1000004 00F21508
	v_cmp_u_f32_e64 s[60:61], v47, v47                         // 000000005CAC: D048003C 00025F2F
	v_add3_u32 v8, v47, v11, 1                                 // 000000005CB4: D1FF0008 0206172F
	v_cndmask_b32_e64 v5, v8, v10, s[60:61]                    // 000000005CBC: D1000005 00F21508
	v_perm_b32 v77, v5, v4, s35                                // 000000005CC4: D1ED004D 008E0905
	v_cmp_u_f32_e64 s[60:61], v48, v48                         // 000000005CCC: D048003C 00026130
	v_add3_u32 v8, v48, v11, 1                                 // 000000005CD4: D1FF0008 02061730
	v_cndmask_b32_e64 v4, v8, v10, s[60:61]                    // 000000005CDC: D1000004 00F21508
	v_cmp_u_f32_e64 s[60:61], v49, v49                         // 000000005CE4: D048003C 00026331
	v_add3_u32 v8, v49, v11, 1                                 // 000000005CEC: D1FF0008 02061731
	v_cndmask_b32_e64 v5, v8, v10, s[60:61]                    // 000000005CF4: D1000005 00F21508
	v_perm_b32 v78, v5, v4, s35                                // 000000005CFC: D1ED004E 008E0905
	v_cmp_u_f32_e64 s[60:61], v50, v50                         // 000000005D04: D048003C 00026532
	v_add3_u32 v8, v50, v11, 1                                 // 000000005D0C: D1FF0008 02061732
	v_cndmask_b32_e64 v4, v8, v10, s[60:61]                    // 000000005D14: D1000004 00F21508
	v_cmp_u_f32_e64 s[60:61], v51, v51                         // 000000005D1C: D048003C 00026733
	v_add3_u32 v8, v51, v11, 1                                 // 000000005D24: D1FF0008 02061733
	v_cndmask_b32_e64 v5, v8, v10, s[60:61]                    // 000000005D2C: D1000005 00F21508
	v_perm_b32 v79, v5, v4, s35                                // 000000005D34: D1ED004F 008E0905
	v_cmp_u_f32_e64 s[60:61], v52, v52                         // 000000005D3C: D048003C 00026934
	v_add3_u32 v8, v52, v11, 1                                 // 000000005D44: D1FF0008 02061734
	v_cndmask_b32_e64 v4, v8, v10, s[60:61]                    // 000000005D4C: D1000004 00F21508
	v_cmp_u_f32_e64 s[60:61], v53, v53                         // 000000005D54: D048003C 00026B35
	v_add3_u32 v8, v53, v11, 1                                 // 000000005D5C: D1FF0008 02061735
	v_cndmask_b32_e64 v5, v8, v10, s[60:61]                    // 000000005D64: D1000005 00F21508
	v_perm_b32 v80, v5, v4, s35                                // 000000005D6C: D1ED0050 008E0905
	v_cmp_u_f32_e64 s[60:61], v54, v54                         // 000000005D74: D048003C 00026D36
	v_add3_u32 v8, v54, v11, 1                                 // 000000005D7C: D1FF0008 02061736
	v_cndmask_b32_e64 v4, v8, v10, s[60:61]                    // 000000005D84: D1000004 00F21508
	v_cmp_u_f32_e64 s[60:61], v55, v55                         // 000000005D8C: D048003C 00026F37
	v_add3_u32 v8, v55, v11, 1                                 // 000000005D94: D1FF0008 02061737
	v_cndmask_b32_e64 v5, v8, v10, s[60:61]                    // 000000005D9C: D1000005 00F21508
	v_perm_b32 v81, v5, v4, s35                                // 000000005DA4: D1ED0051 008E0905
	v_cmp_u_f32_e64 s[60:61], v56, v56                         // 000000005DAC: D048003C 00027138
	v_add3_u32 v8, v56, v11, 1                                 // 000000005DB4: D1FF0008 02061738
	v_cndmask_b32_e64 v4, v8, v10, s[60:61]                    // 000000005DBC: D1000004 00F21508
	v_cmp_u_f32_e64 s[60:61], v57, v57                         // 000000005DC4: D048003C 00027339
	v_add3_u32 v8, v57, v11, 1                                 // 000000005DCC: D1FF0008 02061739
	v_cndmask_b32_e64 v5, v8, v10, s[60:61]                    // 000000005DD4: D1000005 00F21508
	v_perm_b32 v82, v5, v4, s35                                // 000000005DDC: D1ED0052 008E0905
	v_cmp_u_f32_e64 s[60:61], v58, v58                         // 000000005DE4: D048003C 0002753A
	v_add3_u32 v8, v58, v11, 1                                 // 000000005DEC: D1FF0008 0206173A
	v_cndmask_b32_e64 v4, v8, v10, s[60:61]                    // 000000005DF4: D1000004 00F21508
	v_cmp_u_f32_e64 s[60:61], v59, v59                         // 000000005DFC: D048003C 0002773B
	v_add3_u32 v8, v59, v11, 1                                 // 000000005E04: D1FF0008 0206173B
	v_cndmask_b32_e64 v5, v8, v10, s[60:61]                    // 000000005E0C: D1000005 00F21508
	v_perm_b32 v83, v5, v4, s35                                // 000000005E14: D1ED0053 008E0905
	v_cmp_u_f32_e64 s[60:61], v60, v60                         // 000000005E1C: D048003C 0002793C
	v_add3_u32 v8, v60, v11, 1                                 // 000000005E24: D1FF0008 0206173C
	v_cndmask_b32_e64 v4, v8, v10, s[60:61]                    // 000000005E2C: D1000004 00F21508
	v_cmp_u_f32_e64 s[60:61], v61, v61                         // 000000005E34: D048003C 00027B3D
	v_add3_u32 v8, v61, v11, 1                                 // 000000005E3C: D1FF0008 0206173D
	v_cndmask_b32_e64 v5, v8, v10, s[60:61]                    // 000000005E44: D1000005 00F21508
	v_perm_b32 v84, v5, v4, s35                                // 000000005E4C: D1ED0054 008E0905
	v_cmp_u_f32_e64 s[60:61], v62, v62                         // 000000005E54: D048003C 00027D3E
	v_add3_u32 v8, v62, v11, 1                                 // 000000005E5C: D1FF0008 0206173E
	v_cndmask_b32_e64 v4, v8, v10, s[60:61]                    // 000000005E64: D1000004 00F21508
	v_cmp_u_f32_e64 s[60:61], v63, v63                         // 000000005E6C: D048003C 00027F3F
	v_add3_u32 v8, v63, v11, 1                                 // 000000005E74: D1FF0008 0206173F
	v_cndmask_b32_e64 v5, v8, v10, s[60:61]                    // 000000005E7C: D1000005 00F21508
	v_perm_b32 v85, v5, v4, s35                                // 000000005E84: D1ED0055 008E0905
	v_cmp_u_f32_e64 s[60:61], v64, v64                         // 000000005E8C: D048003C 00028140
	v_add3_u32 v8, v64, v11, 1                                 // 000000005E94: D1FF0008 02061740
	v_cndmask_b32_e64 v4, v8, v10, s[60:61]                    // 000000005E9C: D1000004 00F21508
	v_cmp_u_f32_e64 s[60:61], v65, v65                         // 000000005EA4: D048003C 00028341
	v_add3_u32 v8, v65, v11, 1                                 // 000000005EAC: D1FF0008 02061741
	v_cndmask_b32_e64 v5, v8, v10, s[60:61]                    // 000000005EB4: D1000005 00F21508
	v_perm_b32 v86, v5, v4, s35                                // 000000005EBC: D1ED0056 008E0905
	v_cmp_u_f32_e64 s[60:61], v66, v66                         // 000000005EC4: D048003C 00028542
	v_add3_u32 v8, v66, v11, 1                                 // 000000005ECC: D1FF0008 02061742
	v_cndmask_b32_e64 v4, v8, v10, s[60:61]                    // 000000005ED4: D1000004 00F21508
	v_cmp_u_f32_e64 s[60:61], v67, v67                         // 000000005EDC: D048003C 00028743
	v_add3_u32 v8, v67, v11, 1                                 // 000000005EE4: D1FF0008 02061743
	v_cndmask_b32_e64 v5, v8, v10, s[60:61]                    // 000000005EEC: D1000005 00F21508
	v_perm_b32 v87, v5, v4, s35                                // 000000005EF4: D1ED0057 008E0905
	v_cmp_u_f32_e64 s[60:61], v68, v68                         // 000000005EFC: D048003C 00028944
	v_add3_u32 v8, v68, v11, 1                                 // 000000005F04: D1FF0008 02061744
	v_cndmask_b32_e64 v4, v8, v10, s[60:61]                    // 000000005F0C: D1000004 00F21508
	v_cmp_u_f32_e64 s[60:61], v69, v69                         // 000000005F14: D048003C 00028B45
	v_add3_u32 v8, v69, v11, 1                                 // 000000005F1C: D1FF0008 02061745
	v_cndmask_b32_e64 v5, v8, v10, s[60:61]                    // 000000005F24: D1000005 00F21508
	v_perm_b32 v88, v5, v4, s35                                // 000000005F2C: D1ED0058 008E0905
	v_cmp_u_f32_e64 s[60:61], v70, v70                         // 000000005F34: D048003C 00028D46
	v_add3_u32 v8, v70, v11, 1                                 // 000000005F3C: D1FF0008 02061746
	v_cndmask_b32_e64 v4, v8, v10, s[60:61]                    // 000000005F44: D1000004 00F21508
	v_cmp_u_f32_e64 s[60:61], v71, v71                         // 000000005F4C: D048003C 00028F47
	v_add3_u32 v8, v71, v11, 1                                 // 000000005F54: D1FF0008 02061747
	v_cndmask_b32_e64 v5, v8, v10, s[60:61]                    // 000000005F5C: D1000005 00F21508
	v_perm_b32 v89, v5, v4, s35                                // 000000005F64: D1ED0059 008E0905
	v_cmp_u_f32_e64 s[60:61], v72, v72                         // 000000005F6C: D048003C 00029148
	v_add3_u32 v8, v72, v11, 1                                 // 000000005F74: D1FF0008 02061748
	v_cndmask_b32_e64 v4, v8, v10, s[60:61]                    // 000000005F7C: D1000004 00F21508
	v_cmp_u_f32_e64 s[60:61], v73, v73                         // 000000005F84: D048003C 00029349
	v_add3_u32 v8, v73, v11, 1                                 // 000000005F8C: D1FF0008 02061749
	v_cndmask_b32_e64 v5, v8, v10, s[60:61]                    // 000000005F94: D1000005 00F21508
	v_perm_b32 v90, v5, v4, s35                                // 000000005F9C: D1ED005A 008E0905
	v_cmp_u_f32_e64 s[60:61], v74, v74                         // 000000005FA4: D048003C 0002954A
	v_add3_u32 v8, v74, v11, 1                                 // 000000005FAC: D1FF0008 0206174A
	v_cndmask_b32_e64 v4, v8, v10, s[60:61]                    // 000000005FB4: D1000004 00F21508
	v_cmp_u_f32_e64 s[60:61], v75, v75                         // 000000005FBC: D048003C 0002974B
	v_add3_u32 v8, v75, v11, 1                                 // 000000005FC4: D1FF0008 0206174B
	v_cndmask_b32_e64 v5, v8, v10, s[60:61]                    // 000000005FCC: D1000005 00F21508
	v_perm_b32 v91, v5, v4, s35                                // 000000005FD4: D1ED005B 008E0905
	ds_write_b64 v37, v[76:77]                                 // 000000005FDC: D89A0000 00004C25
	ds_write_b64 v37, v[78:79] offset:2176                     // 000000005FE4: D89A0880 00004E25
	ds_write_b64 v37, v[80:81] offset:4352                     // 000000005FEC: D89A1100 00005025
	ds_write_b64 v37, v[82:83] offset:6528                     // 000000005FF4: D89A1980 00005225
	ds_write_b64 v37, v[84:85] offset:8704                     // 000000005FFC: D89A2200 00005425
	ds_write_b64 v37, v[86:87] offset:10880                    // 000000006004: D89A2A80 00005625
	ds_write_b64 v37, v[88:89] offset:13056                    // 00000000600C: D89A3300 00005825
	ds_write_b64 v37, v[90:91] offset:15232                    // 000000006014: D89A3B80 00005A25
	s_waitcnt lgkmcnt(0)                                       // 00000000601C: BF8CC07F
	s_barrier                                                  // 000000006020: BF8A0000
	ds_read_b32 v76, v40                                       // 000000006024: D86C0000 4C000028
	ds_read_b32 v77, v40 offset:64                             // 00000000602C: D86C0040 4D000028
	ds_read_b32 v78, v40 offset:2176                           // 000000006034: D86C0880 4E000028
	ds_read_b32 v79, v40 offset:2240                           // 00000000603C: D86C08C0 4F000028
	ds_read_b32 v80, v40 offset:4352                           // 000000006044: D86C1100 50000028
	ds_read_b32 v81, v40 offset:4416                           // 00000000604C: D86C1140 51000028
	ds_read_b32 v82, v40 offset:6528                           // 000000006054: D86C1980 52000028
	ds_read_b32 v83, v40 offset:6592                           // 00000000605C: D86C19C0 53000028
	ds_read_b32 v84, v40 offset:8704                           // 000000006064: D86C2200 54000028
	ds_read_b32 v85, v40 offset:8768                           // 00000000606C: D86C2240 55000028
	ds_read_b32 v86, v40 offset:10880                          // 000000006074: D86C2A80 56000028
	ds_read_b32 v87, v40 offset:10944                          // 00000000607C: D86C2AC0 57000028
	ds_read_b32 v88, v40 offset:13056                          // 000000006084: D86C3300 58000028
	ds_read_b32 v89, v40 offset:13120                          // 00000000608C: D86C3340 59000028
	ds_read_b32 v90, v40 offset:15232                          // 000000006094: D86C3B80 5A000028
	ds_read_b32 v91, v40 offset:15296                          // 00000000609C: D86C3BC0 5B000028
	s_waitcnt lgkmcnt(0)                                       // 0000000060A4: BF8CC07F
	s_cmp_eq_u32 s24, 0                                        // 0000000060A8: BF068018
	s_cbranch_scc0 label_0DB2                                  // 0000000060AC: BF840006
	s_mov_b32 s31, 0                                           // 0000000060B0: BE9F0080

00000000000060b4 <label_0DAD>:
	s_load_dword s32, s[40:41], s62 glc                        // 0000000060B4: C0010814 0000003E
	s_waitcnt lgkmcnt(0)                                       // 0000000060BC: BF8CC07F
	s_cmp_gt_u32 s32, s31                                      // 0000000060C0: BF081F20
	s_cbranch_scc0 label_0DAD                                  // 0000000060C4: BF84FFFB

00000000000060c8 <label_0DB2>:
	s_barrier                                                  // 0000000060C8: BF8A0000
	s_mul_i32 s31, s30, 8                                      // 0000000060CC: 921F881E
	v_mov_b32_e32 v4, v20                                      // 0000000060D0: 7E080314
	global_atomic_pk_add_bf16 v4, v76, s[16:17]                // 0000000060D4: DD488000 00104C04
	v_add_u32_e64 v4, v4, s31                                  // 0000000060DC: D1340004 00003F04
	global_atomic_pk_add_bf16 v4, v77, s[16:17]                // 0000000060E4: DD488000 00104D04
	v_add_u32_e64 v4, v4, s31                                  // 0000000060EC: D1340004 00003F04
	global_atomic_pk_add_bf16 v4, v78, s[16:17]                // 0000000060F4: DD488000 00104E04
	v_add_u32_e64 v4, v4, s31                                  // 0000000060FC: D1340004 00003F04
	global_atomic_pk_add_bf16 v4, v79, s[16:17]                // 000000006104: DD488000 00104F04
	v_add_u32_e64 v4, v4, s31                                  // 00000000610C: D1340004 00003F04
	global_atomic_pk_add_bf16 v4, v80, s[16:17]                // 000000006114: DD488000 00105004
	v_add_u32_e64 v4, v4, s31                                  // 00000000611C: D1340004 00003F04
	global_atomic_pk_add_bf16 v4, v81, s[16:17]                // 000000006124: DD488000 00105104
	v_add_u32_e64 v4, v4, s31                                  // 00000000612C: D1340004 00003F04
	global_atomic_pk_add_bf16 v4, v82, s[16:17]                // 000000006134: DD488000 00105204
	v_add_u32_e64 v4, v4, s31                                  // 00000000613C: D1340004 00003F04
	global_atomic_pk_add_bf16 v4, v83, s[16:17]                // 000000006144: DD488000 00105304
	v_add_u32_e64 v4, v4, s31                                  // 00000000614C: D1340004 00003F04
	global_atomic_pk_add_bf16 v4, v84, s[16:17]                // 000000006154: DD488000 00105404
	v_add_u32_e64 v4, v4, s31                                  // 00000000615C: D1340004 00003F04
	global_atomic_pk_add_bf16 v4, v85, s[16:17]                // 000000006164: DD488000 00105504
	v_add_u32_e64 v4, v4, s31                                  // 00000000616C: D1340004 00003F04
	global_atomic_pk_add_bf16 v4, v86, s[16:17]                // 000000006174: DD488000 00105604
	v_add_u32_e64 v4, v4, s31                                  // 00000000617C: D1340004 00003F04
	global_atomic_pk_add_bf16 v4, v87, s[16:17]                // 000000006184: DD488000 00105704
	v_add_u32_e64 v4, v4, s31                                  // 00000000618C: D1340004 00003F04
	global_atomic_pk_add_bf16 v4, v88, s[16:17]                // 000000006194: DD488000 00105804
	v_add_u32_e64 v4, v4, s31                                  // 00000000619C: D1340004 00003F04
	global_atomic_pk_add_bf16 v4, v89, s[16:17]                // 0000000061A4: DD488000 00105904
	v_add_u32_e64 v4, v4, s31                                  // 0000000061AC: D1340004 00003F04
	global_atomic_pk_add_bf16 v4, v90, s[16:17]                // 0000000061B4: DD488000 00105A04
	v_add_u32_e64 v4, v4, s31                                  // 0000000061BC: D1340004 00003F04
	global_atomic_pk_add_bf16 v4, v91, s[16:17]                // 0000000061C4: DD488000 00105B04
	v_add_u32_e64 v4, v4, s31                                  // 0000000061CC: D1340004 00003F04
	s_barrier                                                  // 0000000061D4: BF8A0000
	s_cmp_eq_u32 s24, 0                                        // 0000000061D8: BF068018
	s_cbranch_scc0 label_12F3                                  // 0000000061DC: BF8404FB
	s_atomic_dec s52, s[40:41], s62                            // 0000000061E0: C2300D14 0000003E
	s_branch label_12F3                                        // 0000000061E8: BF8204F8

00000000000061ec <label_0DFB>:
	v_mov_b32_e32 v5, 0                                        // 0000000061EC: 7E0A0280
	s_and_b32 s17, s17, 0xffff                                 // 0000000061F0: 8611FF11 0000FFFF
	s_cmp_lt_u32 s54, 1                                        // 0000000061F8: BF0A8136
	s_cbranch_scc0 label_0F5F                                  // 0000000061FC: BF84015F
	v_lshrrev_b32_e32 v4, 4, v0                                // 000000006200: 20080084
	v_mul_u32_u24_e32 v37, 0x44, v4                            // 000000006204: 104A08FF 00000044
	v_and_b32_e32 v4, 15, v0                                   // 00000000620C: 2608008F
	v_mul_lo_u32 v5, 4, v4                                     // 000000006210: D2850005 00020884
	v_add_u32_e32 v37, v5, v37                                 // 000000006218: 684A4B05
	s_mul_i32 s31, s24, 0x110                                  // 00000000621C: 921FFF18 00000110
	v_add_u32_e32 v37, s31, v37                                // 000000006224: 684A4A1F
	v_lshlrev_b32_e32 v37, 2, v37                              // 000000006228: 244A4A82
	v_lshrrev_b32_e32 v4, 2, v0                                // 00000000622C: 20080082
	v_mul_u32_u24_e32 v40, 0x44, v4                            // 000000006230: 105008FF 00000044
	v_and_b32_e32 v4, 3, v0                                    // 000000006238: 26080083
	v_add_u32_e32 v40, v4, v40                                 // 00000000623C: 68505104
	s_mul_i32 s31, s24, 4                                      // 000000006240: 921F8418
	v_add_u32_e32 v40, s31, v40                                // 000000006244: 6850501F
	v_lshlrev_b32_e32 v40, 2, v40                              // 000000006248: 24505082
	s_lshr_b32 s31, s55, 2                                     // 00000000624C: 8F1F8237
	s_and_b32 s32, s55, 3                                      // 000000006250: 86208337
	s_cmp_lt_u32 s24, s32                                      // 000000006254: BF0A2018
	s_cselect_b32 s32, 1, 0                                    // 000000006258: 85208081
	s_add_u32 s55, s31, s32                                    // 00000000625C: 8037201F
	s_mov_b32 s33, 0                                           // 000000006260: BEA10080
	s_waitcnt vmcnt(0) expcnt(0) lgkmcnt(0)                    // 000000006264: BF8C0000
	s_barrier                                                  // 000000006268: BF8A0000
	ds_write_b128 v37, v[44:47]                                // 00000000626C: D9BE0000 00002C25
	ds_write_b128 v37, v[48:51] offset:4352                    // 000000006274: D9BE1100 00003025
	ds_write_b128 v37, v[52:55] offset:8704                    // 00000000627C: D9BE2200 00003425
	ds_write_b128 v37, v[56:59] offset:13056                   // 000000006284: D9BE3300 00003825
	ds_write_b128 v37, v[60:63] offset:17408                   // 00000000628C: D9BE4400 00003C25
	ds_write_b128 v37, v[64:67] offset:21760                   // 000000006294: D9BE5500 00004025
	ds_write_b128 v37, v[68:71] offset:26112                   // 00000000629C: D9BE6600 00004425
	ds_write_b128 v37, v[72:75] offset:30464                   // 0000000062A4: D9BE7700 00004825
	s_waitcnt lgkmcnt(0)                                       // 0000000062AC: BF8CC07F
	s_barrier                                                  // 0000000062B0: BF8A0000
	ds_read_b32 v44, v40                                       // 0000000062B4: D86C0000 2C000028
	ds_read_b32 v45, v40 offset:64                             // 0000000062BC: D86C0040 2D000028
	ds_read_b32 v46, v40 offset:128                            // 0000000062C4: D86C0080 2E000028
	ds_read_b32 v47, v40 offset:192                            // 0000000062CC: D86C00C0 2F000028
	ds_read_b32 v48, v40 offset:4352                           // 0000000062D4: D86C1100 30000028
	ds_read_b32 v49, v40 offset:4416                           // 0000000062DC: D86C1140 31000028
	ds_read_b32 v50, v40 offset:4480                           // 0000000062E4: D86C1180 32000028
	ds_read_b32 v51, v40 offset:4544                           // 0000000062EC: D86C11C0 33000028
	ds_read_b32 v52, v40 offset:8704                           // 0000000062F4: D86C2200 34000028
	ds_read_b32 v53, v40 offset:8768                           // 0000000062FC: D86C2240 35000028
	ds_read_b32 v54, v40 offset:8832                           // 000000006304: D86C2280 36000028
	ds_read_b32 v55, v40 offset:8896                           // 00000000630C: D86C22C0 37000028
	ds_read_b32 v56, v40 offset:13056                          // 000000006314: D86C3300 38000028
	ds_read_b32 v57, v40 offset:13120                          // 00000000631C: D86C3340 39000028
	ds_read_b32 v58, v40 offset:13184                          // 000000006324: D86C3380 3A000028
	ds_read_b32 v59, v40 offset:13248                          // 00000000632C: D86C33C0 3B000028
	ds_read_b32 v60, v40 offset:17408                          // 000000006334: D86C4400 3C000028
	ds_read_b32 v61, v40 offset:17472                          // 00000000633C: D86C4440 3D000028
	ds_read_b32 v62, v40 offset:17536                          // 000000006344: D86C4480 3E000028
	ds_read_b32 v63, v40 offset:17600                          // 00000000634C: D86C44C0 3F000028
	ds_read_b32 v64, v40 offset:21760                          // 000000006354: D86C5500 40000028
	ds_read_b32 v65, v40 offset:21824                          // 00000000635C: D86C5540 41000028
	ds_read_b32 v66, v40 offset:21888                          // 000000006364: D86C5580 42000028
	ds_read_b32 v67, v40 offset:21952                          // 00000000636C: D86C55C0 43000028
	ds_read_b32 v68, v40 offset:26112                          // 000000006374: D86C6600 44000028
	ds_read_b32 v69, v40 offset:26176                          // 00000000637C: D86C6640 45000028
	ds_read_b32 v70, v40 offset:26240                          // 000000006384: D86C6680 46000028
	ds_read_b32 v71, v40 offset:26304                          // 00000000638C: D86C66C0 47000028
	ds_read_b32 v72, v40 offset:30464                          // 000000006394: D86C7700 48000028
	ds_read_b32 v73, v40 offset:30528                          // 00000000639C: D86C7740 49000028
	ds_read_b32 v74, v40 offset:30592                          // 0000000063A4: D86C7780 4A000028
	ds_read_b32 v75, v40 offset:30656                          // 0000000063AC: D86C77C0 4B000028
	s_waitcnt lgkmcnt(0)                                       // 0000000063B4: BF8CC07F
	s_cmp_eq_u32 s24, 0                                        // 0000000063B8: BF068018
	s_cbranch_scc0 label_0E76                                  // 0000000063BC: BF840006
	s_mov_b32 s31, 0                                           // 0000000063C0: BE9F0080

00000000000063c4 <label_0E71>:
	s_load_dword s32, s[40:41], s62 glc                        // 0000000063C4: C0010814 0000003E
	s_waitcnt lgkmcnt(0)                                       // 0000000063CC: BF8CC07F
	s_cmp_gt_u32 s32, s31                                      // 0000000063D0: BF081F20
	s_cbranch_scc0 label_0E71                                  // 0000000063D4: BF84FFFB

00000000000063d8 <label_0E76>:
	s_barrier                                                  // 0000000063D8: BF8A0000
	s_mul_i32 s31, s30, 4                                      // 0000000063DC: 921F841E
	v_mov_b32_e32 v4, v20                                      // 0000000063E0: 7E080314
	s_cmp_lt_i32 s33, s55                                      // 0000000063E4: BF043721
	s_cbranch_scc0 label_0F59                                  // 0000000063E8: BF8400DE
	global_atomic_add_f32 v4, v44, s[16:17]                    // 0000000063EC: DD348000 00102C04
	v_add_u32_e64 v4, v4, s31                                  // 0000000063F4: D1340004 00003F04
	s_addk_i32 s33, 0x1                                        // 0000000063FC: B7210001
	s_cmp_lt_i32 s33, s55                                      // 000000006400: BF043721
	s_cbranch_scc0 label_0F59                                  // 000000006404: BF8400D7
	global_atomic_add_f32 v4, v45, s[16:17]                    // 000000006408: DD348000 00102D04
	v_add_u32_e64 v4, v4, s31                                  // 000000006410: D1340004 00003F04
	s_addk_i32 s33, 0x1                                        // 000000006418: B7210001
	s_cmp_lt_i32 s33, s55                                      // 00000000641C: BF043721
	s_cbranch_scc0 label_0F59                                  // 000000006420: BF8400D0
	global_atomic_add_f32 v4, v46, s[16:17]                    // 000000006424: DD348000 00102E04
	v_add_u32_e64 v4, v4, s31                                  // 00000000642C: D1340004 00003F04
	s_addk_i32 s33, 0x1                                        // 000000006434: B7210001
	s_cmp_lt_i32 s33, s55                                      // 000000006438: BF043721
	s_cbranch_scc0 label_0F59                                  // 00000000643C: BF8400C9
	global_atomic_add_f32 v4, v47, s[16:17]                    // 000000006440: DD348000 00102F04
	v_add_u32_e64 v4, v4, s31                                  // 000000006448: D1340004 00003F04
	s_addk_i32 s33, 0x1                                        // 000000006450: B7210001
	s_cmp_lt_i32 s33, s55                                      // 000000006454: BF043721
	s_cbranch_scc0 label_0F59                                  // 000000006458: BF8400C2
	global_atomic_add_f32 v4, v48, s[16:17]                    // 00000000645C: DD348000 00103004
	v_add_u32_e64 v4, v4, s31                                  // 000000006464: D1340004 00003F04
	s_addk_i32 s33, 0x1                                        // 00000000646C: B7210001
	s_cmp_lt_i32 s33, s55                                      // 000000006470: BF043721
	s_cbranch_scc0 label_0F59                                  // 000000006474: BF8400BB
	global_atomic_add_f32 v4, v49, s[16:17]                    // 000000006478: DD348000 00103104
	v_add_u32_e64 v4, v4, s31                                  // 000000006480: D1340004 00003F04
	s_addk_i32 s33, 0x1                                        // 000000006488: B7210001
	s_cmp_lt_i32 s33, s55                                      // 00000000648C: BF043721
	s_cbranch_scc0 label_0F59                                  // 000000006490: BF8400B4
	global_atomic_add_f32 v4, v50, s[16:17]                    // 000000006494: DD348000 00103204
	v_add_u32_e64 v4, v4, s31                                  // 00000000649C: D1340004 00003F04
	s_addk_i32 s33, 0x1                                        // 0000000064A4: B7210001
	s_cmp_lt_i32 s33, s55                                      // 0000000064A8: BF043721
	s_cbranch_scc0 label_0F59                                  // 0000000064AC: BF8400AD
	global_atomic_add_f32 v4, v51, s[16:17]                    // 0000000064B0: DD348000 00103304
	v_add_u32_e64 v4, v4, s31                                  // 0000000064B8: D1340004 00003F04
	s_addk_i32 s33, 0x1                                        // 0000000064C0: B7210001
	s_cmp_lt_i32 s33, s55                                      // 0000000064C4: BF043721
	s_cbranch_scc0 label_0F59                                  // 0000000064C8: BF8400A6
	global_atomic_add_f32 v4, v52, s[16:17]                    // 0000000064CC: DD348000 00103404
	v_add_u32_e64 v4, v4, s31                                  // 0000000064D4: D1340004 00003F04
	s_addk_i32 s33, 0x1                                        // 0000000064DC: B7210001
	s_cmp_lt_i32 s33, s55                                      // 0000000064E0: BF043721
	s_cbranch_scc0 label_0F59                                  // 0000000064E4: BF84009F
	global_atomic_add_f32 v4, v53, s[16:17]                    // 0000000064E8: DD348000 00103504
	v_add_u32_e64 v4, v4, s31                                  // 0000000064F0: D1340004 00003F04
	s_addk_i32 s33, 0x1                                        // 0000000064F8: B7210001
	s_cmp_lt_i32 s33, s55                                      // 0000000064FC: BF043721
	s_cbranch_scc0 label_0F59                                  // 000000006500: BF840098
	global_atomic_add_f32 v4, v54, s[16:17]                    // 000000006504: DD348000 00103604
	v_add_u32_e64 v4, v4, s31                                  // 00000000650C: D1340004 00003F04
	s_addk_i32 s33, 0x1                                        // 000000006514: B7210001
	s_cmp_lt_i32 s33, s55                                      // 000000006518: BF043721
	s_cbranch_scc0 label_0F59                                  // 00000000651C: BF840091
	global_atomic_add_f32 v4, v55, s[16:17]                    // 000000006520: DD348000 00103704
	v_add_u32_e64 v4, v4, s31                                  // 000000006528: D1340004 00003F04
	s_addk_i32 s33, 0x1                                        // 000000006530: B7210001
	s_cmp_lt_i32 s33, s55                                      // 000000006534: BF043721
	s_cbranch_scc0 label_0F59                                  // 000000006538: BF84008A
	global_atomic_add_f32 v4, v56, s[16:17]                    // 00000000653C: DD348000 00103804
	v_add_u32_e64 v4, v4, s31                                  // 000000006544: D1340004 00003F04
	s_addk_i32 s33, 0x1                                        // 00000000654C: B7210001
	s_cmp_lt_i32 s33, s55                                      // 000000006550: BF043721
	s_cbranch_scc0 label_0F59                                  // 000000006554: BF840083
	global_atomic_add_f32 v4, v57, s[16:17]                    // 000000006558: DD348000 00103904
	v_add_u32_e64 v4, v4, s31                                  // 000000006560: D1340004 00003F04
	s_addk_i32 s33, 0x1                                        // 000000006568: B7210001
	s_cmp_lt_i32 s33, s55                                      // 00000000656C: BF043721
	s_cbranch_scc0 label_0F59                                  // 000000006570: BF84007C
	global_atomic_add_f32 v4, v58, s[16:17]                    // 000000006574: DD348000 00103A04
	v_add_u32_e64 v4, v4, s31                                  // 00000000657C: D1340004 00003F04
	s_addk_i32 s33, 0x1                                        // 000000006584: B7210001
	s_cmp_lt_i32 s33, s55                                      // 000000006588: BF043721
	s_cbranch_scc0 label_0F59                                  // 00000000658C: BF840075
	global_atomic_add_f32 v4, v59, s[16:17]                    // 000000006590: DD348000 00103B04
	v_add_u32_e64 v4, v4, s31                                  // 000000006598: D1340004 00003F04
	s_addk_i32 s33, 0x1                                        // 0000000065A0: B7210001
	s_cmp_lt_i32 s33, s55                                      // 0000000065A4: BF043721
	s_cbranch_scc0 label_0F59                                  // 0000000065A8: BF84006E
	global_atomic_add_f32 v4, v60, s[16:17]                    // 0000000065AC: DD348000 00103C04
	v_add_u32_e64 v4, v4, s31                                  // 0000000065B4: D1340004 00003F04
	s_addk_i32 s33, 0x1                                        // 0000000065BC: B7210001
	s_cmp_lt_i32 s33, s55                                      // 0000000065C0: BF043721
	s_cbranch_scc0 label_0F59                                  // 0000000065C4: BF840067
	global_atomic_add_f32 v4, v61, s[16:17]                    // 0000000065C8: DD348000 00103D04
	v_add_u32_e64 v4, v4, s31                                  // 0000000065D0: D1340004 00003F04
	s_addk_i32 s33, 0x1                                        // 0000000065D8: B7210001
	s_cmp_lt_i32 s33, s55                                      // 0000000065DC: BF043721
	s_cbranch_scc0 label_0F59                                  // 0000000065E0: BF840060
	global_atomic_add_f32 v4, v62, s[16:17]                    // 0000000065E4: DD348000 00103E04
	v_add_u32_e64 v4, v4, s31                                  // 0000000065EC: D1340004 00003F04
	s_addk_i32 s33, 0x1                                        // 0000000065F4: B7210001
	s_cmp_lt_i32 s33, s55                                      // 0000000065F8: BF043721
	s_cbranch_scc0 label_0F59                                  // 0000000065FC: BF840059
	global_atomic_add_f32 v4, v63, s[16:17]                    // 000000006600: DD348000 00103F04
	v_add_u32_e64 v4, v4, s31                                  // 000000006608: D1340004 00003F04
	s_addk_i32 s33, 0x1                                        // 000000006610: B7210001
	s_cmp_lt_i32 s33, s55                                      // 000000006614: BF043721
	s_cbranch_scc0 label_0F59                                  // 000000006618: BF840052
	global_atomic_add_f32 v4, v64, s[16:17]                    // 00000000661C: DD348000 00104004
	v_add_u32_e64 v4, v4, s31                                  // 000000006624: D1340004 00003F04
	s_addk_i32 s33, 0x1                                        // 00000000662C: B7210001
	s_cmp_lt_i32 s33, s55                                      // 000000006630: BF043721
	s_cbranch_scc0 label_0F59                                  // 000000006634: BF84004B
	global_atomic_add_f32 v4, v65, s[16:17]                    // 000000006638: DD348000 00104104
	v_add_u32_e64 v4, v4, s31                                  // 000000006640: D1340004 00003F04
	s_addk_i32 s33, 0x1                                        // 000000006648: B7210001
	s_cmp_lt_i32 s33, s55                                      // 00000000664C: BF043721
	s_cbranch_scc0 label_0F59                                  // 000000006650: BF840044
	global_atomic_add_f32 v4, v66, s[16:17]                    // 000000006654: DD348000 00104204
	v_add_u32_e64 v4, v4, s31                                  // 00000000665C: D1340004 00003F04
	s_addk_i32 s33, 0x1                                        // 000000006664: B7210001
	s_cmp_lt_i32 s33, s55                                      // 000000006668: BF043721
	s_cbranch_scc0 label_0F59                                  // 00000000666C: BF84003D
	global_atomic_add_f32 v4, v67, s[16:17]                    // 000000006670: DD348000 00104304
	v_add_u32_e64 v4, v4, s31                                  // 000000006678: D1340004 00003F04
	s_addk_i32 s33, 0x1                                        // 000000006680: B7210001
	s_cmp_lt_i32 s33, s55                                      // 000000006684: BF043721
	s_cbranch_scc0 label_0F59                                  // 000000006688: BF840036
	global_atomic_add_f32 v4, v68, s[16:17]                    // 00000000668C: DD348000 00104404
	v_add_u32_e64 v4, v4, s31                                  // 000000006694: D1340004 00003F04
	s_addk_i32 s33, 0x1                                        // 00000000669C: B7210001
	s_cmp_lt_i32 s33, s55                                      // 0000000066A0: BF043721
	s_cbranch_scc0 label_0F59                                  // 0000000066A4: BF84002F
	global_atomic_add_f32 v4, v69, s[16:17]                    // 0000000066A8: DD348000 00104504
	v_add_u32_e64 v4, v4, s31                                  // 0000000066B0: D1340004 00003F04
	s_addk_i32 s33, 0x1                                        // 0000000066B8: B7210001
	s_cmp_lt_i32 s33, s55                                      // 0000000066BC: BF043721
	s_cbranch_scc0 label_0F59                                  // 0000000066C0: BF840028
	global_atomic_add_f32 v4, v70, s[16:17]                    // 0000000066C4: DD348000 00104604
	v_add_u32_e64 v4, v4, s31                                  // 0000000066CC: D1340004 00003F04
	s_addk_i32 s33, 0x1                                        // 0000000066D4: B7210001
	s_cmp_lt_i32 s33, s55                                      // 0000000066D8: BF043721
	s_cbranch_scc0 label_0F59                                  // 0000000066DC: BF840021
	global_atomic_add_f32 v4, v71, s[16:17]                    // 0000000066E0: DD348000 00104704
	v_add_u32_e64 v4, v4, s31                                  // 0000000066E8: D1340004 00003F04
	s_addk_i32 s33, 0x1                                        // 0000000066F0: B7210001
	s_cmp_lt_i32 s33, s55                                      // 0000000066F4: BF043721
	s_cbranch_scc0 label_0F59                                  // 0000000066F8: BF84001A
	global_atomic_add_f32 v4, v72, s[16:17]                    // 0000000066FC: DD348000 00104804
	v_add_u32_e64 v4, v4, s31                                  // 000000006704: D1340004 00003F04
	s_addk_i32 s33, 0x1                                        // 00000000670C: B7210001
	s_cmp_lt_i32 s33, s55                                      // 000000006710: BF043721
	s_cbranch_scc0 label_0F59                                  // 000000006714: BF840013
	global_atomic_add_f32 v4, v73, s[16:17]                    // 000000006718: DD348000 00104904
	v_add_u32_e64 v4, v4, s31                                  // 000000006720: D1340004 00003F04
	s_addk_i32 s33, 0x1                                        // 000000006728: B7210001
	s_cmp_lt_i32 s33, s55                                      // 00000000672C: BF043721
	s_cbranch_scc0 label_0F59                                  // 000000006730: BF84000C
	global_atomic_add_f32 v4, v74, s[16:17]                    // 000000006734: DD348000 00104A04
	v_add_u32_e64 v4, v4, s31                                  // 00000000673C: D1340004 00003F04
	s_addk_i32 s33, 0x1                                        // 000000006744: B7210001
	s_cmp_lt_i32 s33, s55                                      // 000000006748: BF043721
	s_cbranch_scc0 label_0F59                                  // 00000000674C: BF840005
	global_atomic_add_f32 v4, v75, s[16:17]                    // 000000006750: DD348000 00104B04
	v_add_u32_e64 v4, v4, s31                                  // 000000006758: D1340004 00003F04
	s_addk_i32 s33, 0x1                                        // 000000006760: B7210001

0000000000006764 <label_0F59>:
	s_barrier                                                  // 000000006764: BF8A0000
	s_cmp_eq_u32 s24, 0                                        // 000000006768: BF068018
	s_cbranch_scc0 label_12F3                                  // 00000000676C: BF840397
	s_atomic_dec s52, s[40:41], s62                            // 000000006770: C2300D14 0000003E
	s_branch label_12F3                                        // 000000006778: BF820394

000000000000677c <label_0F5F>:
	v_lshrrev_b32_e32 v4, 4, v0                                // 00000000677C: 20080084
	v_mul_u32_u24_e32 v37, 34, v4                              // 000000006780: 104A08A2
	v_and_b32_e32 v4, 15, v0                                   // 000000006784: 2608008F
	v_mul_lo_u32 v5, 2, v4                                     // 000000006788: D2850005 00020882
	v_add_u32_e32 v37, v5, v37                                 // 000000006790: 684A4B05
	s_mul_i32 s31, s24, 0x88                                   // 000000006794: 921FFF18 00000088
	v_add_u32_e32 v37, s31, v37                                // 00000000679C: 684A4A1F
	v_lshlrev_b32_e32 v37, 2, v37                              // 0000000067A0: 244A4A82
	v_and_b32_e32 v4, 31, v0                                   // 0000000067A4: 2608009F
	v_lshrrev_b32_e32 v5, 1, v4                                // 0000000067A8: 200A0881
	v_mul_u32_u24_e32 v40, 34, v5                              // 0000000067AC: 10500AA2
	v_and_b32_e32 v5, 1, v4                                    // 0000000067B0: 260A0881
	v_add_u32_e32 v40, v5, v40                                 // 0000000067B4: 68505105
	v_lshrrev_b32_e32 v4, 5, v0                                // 0000000067B8: 20080085
	v_mul_u32_u24_e32 v4, 8, v4                                // 0000000067BC: 10080888
	v_add_u32_e32 v40, v4, v40                                 // 0000000067C0: 68505104
	s_mul_i32 s31, s24, 2                                      // 0000000067C4: 921F8218
	v_add_u32_e32 v40, s31, v40                                // 0000000067C8: 6850501F
	v_lshlrev_b32_e32 v40, 2, v40                              // 0000000067CC: 24505082
	s_lshr_b32 s31, s55, 2                                     // 0000000067D0: 8F1F8237
	s_and_b32 s32, s55, 3                                      // 0000000067D4: 86208337
	s_cmp_lt_u32 s24, s32                                      // 0000000067D8: BF0A2018
	s_cselect_b32 s32, 1, 0                                    // 0000000067DC: 85208081
	s_add_u32 s55, s31, s32                                    // 0000000067E0: 8037201F
	s_mov_b32 s33, 0                                           // 0000000067E4: BEA10080
	s_waitcnt vmcnt(0) expcnt(0) lgkmcnt(0)                    // 0000000067E8: BF8C0000
	s_barrier                                                  // 0000000067EC: BF8A0000
	v_cmp_u_f32_e64 s[60:61], v44, v44                         // 0000000067F0: D048003C 0002592C
	v_add3_u32 v8, v44, v11, 1                                 // 0000000067F8: D1FF0008 0206172C
	v_cndmask_b32_e64 v4, v8, v10, s[60:61]                    // 000000006800: D1000004 00F21508
	v_cmp_u_f32_e64 s[60:61], v45, v45                         // 000000006808: D048003C 00025B2D
	v_add3_u32 v8, v45, v11, 1                                 // 000000006810: D1FF0008 0206172D
	v_cndmask_b32_e64 v5, v8, v10, s[60:61]                    // 000000006818: D1000005 00F21508
	v_perm_b32 v76, v5, v4, s35                                // 000000006820: D1ED004C 008E0905
	v_cmp_u_f32_e64 s[60:61], v46, v46                         // 000000006828: D048003C 00025D2E
	v_add3_u32 v8, v46, v11, 1                                 // 000000006830: D1FF0008 0206172E
	v_cndmask_b32_e64 v4, v8, v10, s[60:61]                    // 000000006838: D1000004 00F21508
	v_cmp_u_f32_e64 s[60:61], v47, v47                         // 000000006840: D048003C 00025F2F
	v_add3_u32 v8, v47, v11, 1                                 // 000000006848: D1FF0008 0206172F
	v_cndmask_b32_e64 v5, v8, v10, s[60:61]                    // 000000006850: D1000005 00F21508
	v_perm_b32 v77, v5, v4, s35                                // 000000006858: D1ED004D 008E0905
	v_cmp_u_f32_e64 s[60:61], v48, v48                         // 000000006860: D048003C 00026130
	v_add3_u32 v8, v48, v11, 1                                 // 000000006868: D1FF0008 02061730
	v_cndmask_b32_e64 v4, v8, v10, s[60:61]                    // 000000006870: D1000004 00F21508
	v_cmp_u_f32_e64 s[60:61], v49, v49                         // 000000006878: D048003C 00026331
	v_add3_u32 v8, v49, v11, 1                                 // 000000006880: D1FF0008 02061731
	v_cndmask_b32_e64 v5, v8, v10, s[60:61]                    // 000000006888: D1000005 00F21508
	v_perm_b32 v78, v5, v4, s35                                // 000000006890: D1ED004E 008E0905
	v_cmp_u_f32_e64 s[60:61], v50, v50                         // 000000006898: D048003C 00026532
	v_add3_u32 v8, v50, v11, 1                                 // 0000000068A0: D1FF0008 02061732
	v_cndmask_b32_e64 v4, v8, v10, s[60:61]                    // 0000000068A8: D1000004 00F21508
	v_cmp_u_f32_e64 s[60:61], v51, v51                         // 0000000068B0: D048003C 00026733
	v_add3_u32 v8, v51, v11, 1                                 // 0000000068B8: D1FF0008 02061733
	v_cndmask_b32_e64 v5, v8, v10, s[60:61]                    // 0000000068C0: D1000005 00F21508
	v_perm_b32 v79, v5, v4, s35                                // 0000000068C8: D1ED004F 008E0905
	v_cmp_u_f32_e64 s[60:61], v52, v52                         // 0000000068D0: D048003C 00026934
	v_add3_u32 v8, v52, v11, 1                                 // 0000000068D8: D1FF0008 02061734
	v_cndmask_b32_e64 v4, v8, v10, s[60:61]                    // 0000000068E0: D1000004 00F21508
	v_cmp_u_f32_e64 s[60:61], v53, v53                         // 0000000068E8: D048003C 00026B35
	v_add3_u32 v8, v53, v11, 1                                 // 0000000068F0: D1FF0008 02061735
	v_cndmask_b32_e64 v5, v8, v10, s[60:61]                    // 0000000068F8: D1000005 00F21508
	v_perm_b32 v80, v5, v4, s35                                // 000000006900: D1ED0050 008E0905
	v_cmp_u_f32_e64 s[60:61], v54, v54                         // 000000006908: D048003C 00026D36
	v_add3_u32 v8, v54, v11, 1                                 // 000000006910: D1FF0008 02061736
	v_cndmask_b32_e64 v4, v8, v10, s[60:61]                    // 000000006918: D1000004 00F21508
	v_cmp_u_f32_e64 s[60:61], v55, v55                         // 000000006920: D048003C 00026F37
	v_add3_u32 v8, v55, v11, 1                                 // 000000006928: D1FF0008 02061737
	v_cndmask_b32_e64 v5, v8, v10, s[60:61]                    // 000000006930: D1000005 00F21508
	v_perm_b32 v81, v5, v4, s35                                // 000000006938: D1ED0051 008E0905
	v_cmp_u_f32_e64 s[60:61], v56, v56                         // 000000006940: D048003C 00027138
	v_add3_u32 v8, v56, v11, 1                                 // 000000006948: D1FF0008 02061738
	v_cndmask_b32_e64 v4, v8, v10, s[60:61]                    // 000000006950: D1000004 00F21508
	v_cmp_u_f32_e64 s[60:61], v57, v57                         // 000000006958: D048003C 00027339
	v_add3_u32 v8, v57, v11, 1                                 // 000000006960: D1FF0008 02061739
	v_cndmask_b32_e64 v5, v8, v10, s[60:61]                    // 000000006968: D1000005 00F21508
	v_perm_b32 v82, v5, v4, s35                                // 000000006970: D1ED0052 008E0905
	v_cmp_u_f32_e64 s[60:61], v58, v58                         // 000000006978: D048003C 0002753A
	v_add3_u32 v8, v58, v11, 1                                 // 000000006980: D1FF0008 0206173A
	v_cndmask_b32_e64 v4, v8, v10, s[60:61]                    // 000000006988: D1000004 00F21508
	v_cmp_u_f32_e64 s[60:61], v59, v59                         // 000000006990: D048003C 0002773B
	v_add3_u32 v8, v59, v11, 1                                 // 000000006998: D1FF0008 0206173B
	v_cndmask_b32_e64 v5, v8, v10, s[60:61]                    // 0000000069A0: D1000005 00F21508
	v_perm_b32 v83, v5, v4, s35                                // 0000000069A8: D1ED0053 008E0905
	v_cmp_u_f32_e64 s[60:61], v60, v60                         // 0000000069B0: D048003C 0002793C
	v_add3_u32 v8, v60, v11, 1                                 // 0000000069B8: D1FF0008 0206173C
	v_cndmask_b32_e64 v4, v8, v10, s[60:61]                    // 0000000069C0: D1000004 00F21508
	v_cmp_u_f32_e64 s[60:61], v61, v61                         // 0000000069C8: D048003C 00027B3D
	v_add3_u32 v8, v61, v11, 1                                 // 0000000069D0: D1FF0008 0206173D
	v_cndmask_b32_e64 v5, v8, v10, s[60:61]                    // 0000000069D8: D1000005 00F21508
	v_perm_b32 v84, v5, v4, s35                                // 0000000069E0: D1ED0054 008E0905
	v_cmp_u_f32_e64 s[60:61], v62, v62                         // 0000000069E8: D048003C 00027D3E
	v_add3_u32 v8, v62, v11, 1                                 // 0000000069F0: D1FF0008 0206173E
	v_cndmask_b32_e64 v4, v8, v10, s[60:61]                    // 0000000069F8: D1000004 00F21508
	v_cmp_u_f32_e64 s[60:61], v63, v63                         // 000000006A00: D048003C 00027F3F
	v_add3_u32 v8, v63, v11, 1                                 // 000000006A08: D1FF0008 0206173F
	v_cndmask_b32_e64 v5, v8, v10, s[60:61]                    // 000000006A10: D1000005 00F21508
	v_perm_b32 v85, v5, v4, s35                                // 000000006A18: D1ED0055 008E0905
	v_cmp_u_f32_e64 s[60:61], v64, v64                         // 000000006A20: D048003C 00028140
	v_add3_u32 v8, v64, v11, 1                                 // 000000006A28: D1FF0008 02061740
	v_cndmask_b32_e64 v4, v8, v10, s[60:61]                    // 000000006A30: D1000004 00F21508
	v_cmp_u_f32_e64 s[60:61], v65, v65                         // 000000006A38: D048003C 00028341
	v_add3_u32 v8, v65, v11, 1                                 // 000000006A40: D1FF0008 02061741
	v_cndmask_b32_e64 v5, v8, v10, s[60:61]                    // 000000006A48: D1000005 00F21508
	v_perm_b32 v86, v5, v4, s35                                // 000000006A50: D1ED0056 008E0905
	v_cmp_u_f32_e64 s[60:61], v66, v66                         // 000000006A58: D048003C 00028542
	v_add3_u32 v8, v66, v11, 1                                 // 000000006A60: D1FF0008 02061742
	v_cndmask_b32_e64 v4, v8, v10, s[60:61]                    // 000000006A68: D1000004 00F21508
	v_cmp_u_f32_e64 s[60:61], v67, v67                         // 000000006A70: D048003C 00028743
	v_add3_u32 v8, v67, v11, 1                                 // 000000006A78: D1FF0008 02061743
	v_cndmask_b32_e64 v5, v8, v10, s[60:61]                    // 000000006A80: D1000005 00F21508
	v_perm_b32 v87, v5, v4, s35                                // 000000006A88: D1ED0057 008E0905
	v_cmp_u_f32_e64 s[60:61], v68, v68                         // 000000006A90: D048003C 00028944
	v_add3_u32 v8, v68, v11, 1                                 // 000000006A98: D1FF0008 02061744
	v_cndmask_b32_e64 v4, v8, v10, s[60:61]                    // 000000006AA0: D1000004 00F21508
	v_cmp_u_f32_e64 s[60:61], v69, v69                         // 000000006AA8: D048003C 00028B45
	v_add3_u32 v8, v69, v11, 1                                 // 000000006AB0: D1FF0008 02061745
	v_cndmask_b32_e64 v5, v8, v10, s[60:61]                    // 000000006AB8: D1000005 00F21508
	v_perm_b32 v88, v5, v4, s35                                // 000000006AC0: D1ED0058 008E0905
	v_cmp_u_f32_e64 s[60:61], v70, v70                         // 000000006AC8: D048003C 00028D46
	v_add3_u32 v8, v70, v11, 1                                 // 000000006AD0: D1FF0008 02061746
	v_cndmask_b32_e64 v4, v8, v10, s[60:61]                    // 000000006AD8: D1000004 00F21508
	v_cmp_u_f32_e64 s[60:61], v71, v71                         // 000000006AE0: D048003C 00028F47
	v_add3_u32 v8, v71, v11, 1                                 // 000000006AE8: D1FF0008 02061747
	v_cndmask_b32_e64 v5, v8, v10, s[60:61]                    // 000000006AF0: D1000005 00F21508
	v_perm_b32 v89, v5, v4, s35                                // 000000006AF8: D1ED0059 008E0905
	v_cmp_u_f32_e64 s[60:61], v72, v72                         // 000000006B00: D048003C 00029148
	v_add3_u32 v8, v72, v11, 1                                 // 000000006B08: D1FF0008 02061748
	v_cndmask_b32_e64 v4, v8, v10, s[60:61]                    // 000000006B10: D1000004 00F21508
	v_cmp_u_f32_e64 s[60:61], v73, v73                         // 000000006B18: D048003C 00029349
	v_add3_u32 v8, v73, v11, 1                                 // 000000006B20: D1FF0008 02061749
	v_cndmask_b32_e64 v5, v8, v10, s[60:61]                    // 000000006B28: D1000005 00F21508
	v_perm_b32 v90, v5, v4, s35                                // 000000006B30: D1ED005A 008E0905
	v_cmp_u_f32_e64 s[60:61], v74, v74                         // 000000006B38: D048003C 0002954A
	v_add3_u32 v8, v74, v11, 1                                 // 000000006B40: D1FF0008 0206174A
	v_cndmask_b32_e64 v4, v8, v10, s[60:61]                    // 000000006B48: D1000004 00F21508
	v_cmp_u_f32_e64 s[60:61], v75, v75                         // 000000006B50: D048003C 0002974B
	v_add3_u32 v8, v75, v11, 1                                 // 000000006B58: D1FF0008 0206174B
	v_cndmask_b32_e64 v5, v8, v10, s[60:61]                    // 000000006B60: D1000005 00F21508
	v_perm_b32 v91, v5, v4, s35                                // 000000006B68: D1ED005B 008E0905
	ds_write_b64 v37, v[76:77]                                 // 000000006B70: D89A0000 00004C25
	ds_write_b64 v37, v[78:79] offset:2176                     // 000000006B78: D89A0880 00004E25
	ds_write_b64 v37, v[80:81] offset:4352                     // 000000006B80: D89A1100 00005025
	ds_write_b64 v37, v[82:83] offset:6528                     // 000000006B88: D89A1980 00005225
	ds_write_b64 v37, v[84:85] offset:8704                     // 000000006B90: D89A2200 00005425
	ds_write_b64 v37, v[86:87] offset:10880                    // 000000006B98: D89A2A80 00005625
	ds_write_b64 v37, v[88:89] offset:13056                    // 000000006BA0: D89A3300 00005825
	ds_write_b64 v37, v[90:91] offset:15232                    // 000000006BA8: D89A3B80 00005A25
	s_waitcnt lgkmcnt(0)                                       // 000000006BB0: BF8CC07F
	s_barrier                                                  // 000000006BB4: BF8A0000
	ds_read_b32 v76, v40                                       // 000000006BB8: D86C0000 4C000028
	ds_read_b32 v77, v40 offset:64                             // 000000006BC0: D86C0040 4D000028
	ds_read_b32 v78, v40 offset:2176                           // 000000006BC8: D86C0880 4E000028
	ds_read_b32 v79, v40 offset:2240                           // 000000006BD0: D86C08C0 4F000028
	ds_read_b32 v80, v40 offset:4352                           // 000000006BD8: D86C1100 50000028
	ds_read_b32 v81, v40 offset:4416                           // 000000006BE0: D86C1140 51000028
	ds_read_b32 v82, v40 offset:6528                           // 000000006BE8: D86C1980 52000028
	ds_read_b32 v83, v40 offset:6592                           // 000000006BF0: D86C19C0 53000028
	ds_read_b32 v84, v40 offset:8704                           // 000000006BF8: D86C2200 54000028
	ds_read_b32 v85, v40 offset:8768                           // 000000006C00: D86C2240 55000028
	ds_read_b32 v86, v40 offset:10880                          // 000000006C08: D86C2A80 56000028
	ds_read_b32 v87, v40 offset:10944                          // 000000006C10: D86C2AC0 57000028
	ds_read_b32 v88, v40 offset:13056                          // 000000006C18: D86C3300 58000028
	ds_read_b32 v89, v40 offset:13120                          // 000000006C20: D86C3340 59000028
	ds_read_b32 v90, v40 offset:15232                          // 000000006C28: D86C3B80 5A000028
	ds_read_b32 v91, v40 offset:15296                          // 000000006C30: D86C3BC0 5B000028
	s_waitcnt lgkmcnt(0)                                       // 000000006C38: BF8CC07F
	s_cmp_eq_u32 s24, 0                                        // 000000006C3C: BF068018
	s_cbranch_scc0 label_1097                                  // 000000006C40: BF840006
	s_mov_b32 s31, 0                                           // 000000006C44: BE9F0080

0000000000006c48 <label_1092>:
	s_load_dword s32, s[40:41], s62 glc                        // 000000006C48: C0010814 0000003E
	s_waitcnt lgkmcnt(0)                                       // 000000006C50: BF8CC07F
	s_cmp_gt_u32 s32, s31                                      // 000000006C54: BF081F20
	s_cbranch_scc0 label_1092                                  // 000000006C58: BF84FFFB

0000000000006c5c <label_1097>:
	s_barrier                                                  // 000000006C5C: BF8A0000
	s_mul_i32 s31, s30, 8                                      // 000000006C60: 921F881E
	v_mov_b32_e32 v4, v20                                      // 000000006C64: 7E080314
	s_cmp_lt_i32 s33, s55                                      // 000000006C68: BF043721
	s_cbranch_scc0 label_11EA                                  // 000000006C6C: BF84014E
	s_mov_b32 s58, -1                                          // 000000006C70: BEBA00C1
	s_mov_b32 s59, 0                                           // 000000006C74: BEBB0080
	s_mov_b64 exec, s[58:59]                                   // 000000006C78: BEFE013A
	global_atomic_pk_add_bf16 v4, v76, s[16:17]                // 000000006C7C: DD488000 00104C04
	s_addk_i32 s33, 0x1                                        // 000000006C84: B7210001
	s_cmp_lt_i32 s33, s55                                      // 000000006C88: BF043721
	s_cbranch_scc0 label_11EA                                  // 000000006C8C: BF840146
	s_mov_b32 s58, 0                                           // 000000006C90: BEBA0080
	s_mov_b32 s59, -1                                          // 000000006C94: BEBB00C1
	s_mov_b64 exec, s[58:59]                                   // 000000006C98: BEFE013A
	global_atomic_pk_add_bf16 v4, v76, s[16:17]                // 000000006C9C: DD488000 00104C04
	s_addk_i32 s33, 0x1                                        // 000000006CA4: B7210001
	s_mov_b32 s58, -1                                          // 000000006CA8: BEBA00C1
	s_mov_b32 s59, -1                                          // 000000006CAC: BEBB00C1
	s_mov_b64 exec, s[58:59]                                   // 000000006CB0: BEFE013A
	v_add_u32_e64 v4, v4, s31                                  // 000000006CB4: D1340004 00003F04
	s_cmp_lt_i32 s33, s55                                      // 000000006CBC: BF043721
	s_cbranch_scc0 label_11EA                                  // 000000006CC0: BF840139
	s_mov_b32 s58, -1                                          // 000000006CC4: BEBA00C1
	s_mov_b32 s59, 0                                           // 000000006CC8: BEBB0080
	s_mov_b64 exec, s[58:59]                                   // 000000006CCC: BEFE013A
	global_atomic_pk_add_bf16 v4, v77, s[16:17]                // 000000006CD0: DD488000 00104D04
	s_addk_i32 s33, 0x1                                        // 000000006CD8: B7210001
	s_cmp_lt_i32 s33, s55                                      // 000000006CDC: BF043721
	s_cbranch_scc0 label_11EA                                  // 000000006CE0: BF840131
	s_mov_b32 s58, 0                                           // 000000006CE4: BEBA0080
	s_mov_b32 s59, -1                                          // 000000006CE8: BEBB00C1
	s_mov_b64 exec, s[58:59]                                   // 000000006CEC: BEFE013A
	global_atomic_pk_add_bf16 v4, v77, s[16:17]                // 000000006CF0: DD488000 00104D04
	s_addk_i32 s33, 0x1                                        // 000000006CF8: B7210001
	s_mov_b32 s58, -1                                          // 000000006CFC: BEBA00C1
	s_mov_b32 s59, -1                                          // 000000006D00: BEBB00C1
	s_mov_b64 exec, s[58:59]                                   // 000000006D04: BEFE013A
	v_add_u32_e64 v4, v4, s31                                  // 000000006D08: D1340004 00003F04
	s_cmp_lt_i32 s33, s55                                      // 000000006D10: BF043721
	s_cbranch_scc0 label_11EA                                  // 000000006D14: BF840124
	s_mov_b32 s58, -1                                          // 000000006D18: BEBA00C1
	s_mov_b32 s59, 0                                           // 000000006D1C: BEBB0080
	s_mov_b64 exec, s[58:59]                                   // 000000006D20: BEFE013A
	global_atomic_pk_add_bf16 v4, v78, s[16:17]                // 000000006D24: DD488000 00104E04
	s_addk_i32 s33, 0x1                                        // 000000006D2C: B7210001
	s_cmp_lt_i32 s33, s55                                      // 000000006D30: BF043721
	s_cbranch_scc0 label_11EA                                  // 000000006D34: BF84011C
	s_mov_b32 s58, 0                                           // 000000006D38: BEBA0080
	s_mov_b32 s59, -1                                          // 000000006D3C: BEBB00C1
	s_mov_b64 exec, s[58:59]                                   // 000000006D40: BEFE013A
	global_atomic_pk_add_bf16 v4, v78, s[16:17]                // 000000006D44: DD488000 00104E04
	s_addk_i32 s33, 0x1                                        // 000000006D4C: B7210001
	s_mov_b32 s58, -1                                          // 000000006D50: BEBA00C1
	s_mov_b32 s59, -1                                          // 000000006D54: BEBB00C1
	s_mov_b64 exec, s[58:59]                                   // 000000006D58: BEFE013A
	v_add_u32_e64 v4, v4, s31                                  // 000000006D5C: D1340004 00003F04
	s_cmp_lt_i32 s33, s55                                      // 000000006D64: BF043721
	s_cbranch_scc0 label_11EA                                  // 000000006D68: BF84010F
	s_mov_b32 s58, -1                                          // 000000006D6C: BEBA00C1
	s_mov_b32 s59, 0                                           // 000000006D70: BEBB0080
	s_mov_b64 exec, s[58:59]                                   // 000000006D74: BEFE013A
	global_atomic_pk_add_bf16 v4, v79, s[16:17]                // 000000006D78: DD488000 00104F04
	s_addk_i32 s33, 0x1                                        // 000000006D80: B7210001
	s_cmp_lt_i32 s33, s55                                      // 000000006D84: BF043721
	s_cbranch_scc0 label_11EA                                  // 000000006D88: BF840107
	s_mov_b32 s58, 0                                           // 000000006D8C: BEBA0080
	s_mov_b32 s59, -1                                          // 000000006D90: BEBB00C1
	s_mov_b64 exec, s[58:59]                                   // 000000006D94: BEFE013A
	global_atomic_pk_add_bf16 v4, v79, s[16:17]                // 000000006D98: DD488000 00104F04
	s_addk_i32 s33, 0x1                                        // 000000006DA0: B7210001
	s_mov_b32 s58, -1                                          // 000000006DA4: BEBA00C1
	s_mov_b32 s59, -1                                          // 000000006DA8: BEBB00C1
	s_mov_b64 exec, s[58:59]                                   // 000000006DAC: BEFE013A
	v_add_u32_e64 v4, v4, s31                                  // 000000006DB0: D1340004 00003F04
	s_cmp_lt_i32 s33, s55                                      // 000000006DB8: BF043721
	s_cbranch_scc0 label_11EA                                  // 000000006DBC: BF8400FA
	s_mov_b32 s58, -1                                          // 000000006DC0: BEBA00C1
	s_mov_b32 s59, 0                                           // 000000006DC4: BEBB0080
	s_mov_b64 exec, s[58:59]                                   // 000000006DC8: BEFE013A
	global_atomic_pk_add_bf16 v4, v80, s[16:17]                // 000000006DCC: DD488000 00105004
	s_addk_i32 s33, 0x1                                        // 000000006DD4: B7210001
	s_cmp_lt_i32 s33, s55                                      // 000000006DD8: BF043721
	s_cbranch_scc0 label_11EA                                  // 000000006DDC: BF8400F2
	s_mov_b32 s58, 0                                           // 000000006DE0: BEBA0080
	s_mov_b32 s59, -1                                          // 000000006DE4: BEBB00C1
	s_mov_b64 exec, s[58:59]                                   // 000000006DE8: BEFE013A
	global_atomic_pk_add_bf16 v4, v80, s[16:17]                // 000000006DEC: DD488000 00105004
	s_addk_i32 s33, 0x1                                        // 000000006DF4: B7210001
	s_mov_b32 s58, -1                                          // 000000006DF8: BEBA00C1
	s_mov_b32 s59, -1                                          // 000000006DFC: BEBB00C1
	s_mov_b64 exec, s[58:59]                                   // 000000006E00: BEFE013A
	v_add_u32_e64 v4, v4, s31                                  // 000000006E04: D1340004 00003F04
	s_cmp_lt_i32 s33, s55                                      // 000000006E0C: BF043721
	s_cbranch_scc0 label_11EA                                  // 000000006E10: BF8400E5
	s_mov_b32 s58, -1                                          // 000000006E14: BEBA00C1
	s_mov_b32 s59, 0                                           // 000000006E18: BEBB0080
	s_mov_b64 exec, s[58:59]                                   // 000000006E1C: BEFE013A
	global_atomic_pk_add_bf16 v4, v81, s[16:17]                // 000000006E20: DD488000 00105104
	s_addk_i32 s33, 0x1                                        // 000000006E28: B7210001
	s_cmp_lt_i32 s33, s55                                      // 000000006E2C: BF043721
	s_cbranch_scc0 label_11EA                                  // 000000006E30: BF8400DD
	s_mov_b32 s58, 0                                           // 000000006E34: BEBA0080
	s_mov_b32 s59, -1                                          // 000000006E38: BEBB00C1
	s_mov_b64 exec, s[58:59]                                   // 000000006E3C: BEFE013A
	global_atomic_pk_add_bf16 v4, v81, s[16:17]                // 000000006E40: DD488000 00105104
	s_addk_i32 s33, 0x1                                        // 000000006E48: B7210001
	s_mov_b32 s58, -1                                          // 000000006E4C: BEBA00C1
	s_mov_b32 s59, -1                                          // 000000006E50: BEBB00C1
	s_mov_b64 exec, s[58:59]                                   // 000000006E54: BEFE013A
	v_add_u32_e64 v4, v4, s31                                  // 000000006E58: D1340004 00003F04
	s_cmp_lt_i32 s33, s55                                      // 000000006E60: BF043721
	s_cbranch_scc0 label_11EA                                  // 000000006E64: BF8400D0
	s_mov_b32 s58, -1                                          // 000000006E68: BEBA00C1
	s_mov_b32 s59, 0                                           // 000000006E6C: BEBB0080
	s_mov_b64 exec, s[58:59]                                   // 000000006E70: BEFE013A
	global_atomic_pk_add_bf16 v4, v82, s[16:17]                // 000000006E74: DD488000 00105204
	s_addk_i32 s33, 0x1                                        // 000000006E7C: B7210001
	s_cmp_lt_i32 s33, s55                                      // 000000006E80: BF043721
	s_cbranch_scc0 label_11EA                                  // 000000006E84: BF8400C8
	s_mov_b32 s58, 0                                           // 000000006E88: BEBA0080
	s_mov_b32 s59, -1                                          // 000000006E8C: BEBB00C1
	s_mov_b64 exec, s[58:59]                                   // 000000006E90: BEFE013A
	global_atomic_pk_add_bf16 v4, v82, s[16:17]                // 000000006E94: DD488000 00105204
	s_addk_i32 s33, 0x1                                        // 000000006E9C: B7210001
	s_mov_b32 s58, -1                                          // 000000006EA0: BEBA00C1
	s_mov_b32 s59, -1                                          // 000000006EA4: BEBB00C1
	s_mov_b64 exec, s[58:59]                                   // 000000006EA8: BEFE013A
	v_add_u32_e64 v4, v4, s31                                  // 000000006EAC: D1340004 00003F04
	s_cmp_lt_i32 s33, s55                                      // 000000006EB4: BF043721
	s_cbranch_scc0 label_11EA                                  // 000000006EB8: BF8400BB
	s_mov_b32 s58, -1                                          // 000000006EBC: BEBA00C1
	s_mov_b32 s59, 0                                           // 000000006EC0: BEBB0080
	s_mov_b64 exec, s[58:59]                                   // 000000006EC4: BEFE013A
	global_atomic_pk_add_bf16 v4, v83, s[16:17]                // 000000006EC8: DD488000 00105304
	s_addk_i32 s33, 0x1                                        // 000000006ED0: B7210001
	s_cmp_lt_i32 s33, s55                                      // 000000006ED4: BF043721
	s_cbranch_scc0 label_11EA                                  // 000000006ED8: BF8400B3
	s_mov_b32 s58, 0                                           // 000000006EDC: BEBA0080
	s_mov_b32 s59, -1                                          // 000000006EE0: BEBB00C1
	s_mov_b64 exec, s[58:59]                                   // 000000006EE4: BEFE013A
	global_atomic_pk_add_bf16 v4, v83, s[16:17]                // 000000006EE8: DD488000 00105304
	s_addk_i32 s33, 0x1                                        // 000000006EF0: B7210001
	s_mov_b32 s58, -1                                          // 000000006EF4: BEBA00C1
	s_mov_b32 s59, -1                                          // 000000006EF8: BEBB00C1
	s_mov_b64 exec, s[58:59]                                   // 000000006EFC: BEFE013A
	v_add_u32_e64 v4, v4, s31                                  // 000000006F00: D1340004 00003F04
	s_cmp_lt_i32 s33, s55                                      // 000000006F08: BF043721
	s_cbranch_scc0 label_11EA                                  // 000000006F0C: BF8400A6
	s_mov_b32 s58, -1                                          // 000000006F10: BEBA00C1
	s_mov_b32 s59, 0                                           // 000000006F14: BEBB0080
	s_mov_b64 exec, s[58:59]                                   // 000000006F18: BEFE013A
	global_atomic_pk_add_bf16 v4, v84, s[16:17]                // 000000006F1C: DD488000 00105404
	s_addk_i32 s33, 0x1                                        // 000000006F24: B7210001
	s_cmp_lt_i32 s33, s55                                      // 000000006F28: BF043721
	s_cbranch_scc0 label_11EA                                  // 000000006F2C: BF84009E
	s_mov_b32 s58, 0                                           // 000000006F30: BEBA0080
	s_mov_b32 s59, -1                                          // 000000006F34: BEBB00C1
	s_mov_b64 exec, s[58:59]                                   // 000000006F38: BEFE013A
	global_atomic_pk_add_bf16 v4, v84, s[16:17]                // 000000006F3C: DD488000 00105404
	s_addk_i32 s33, 0x1                                        // 000000006F44: B7210001
	s_mov_b32 s58, -1                                          // 000000006F48: BEBA00C1
	s_mov_b32 s59, -1                                          // 000000006F4C: BEBB00C1
	s_mov_b64 exec, s[58:59]                                   // 000000006F50: BEFE013A
	v_add_u32_e64 v4, v4, s31                                  // 000000006F54: D1340004 00003F04
	s_cmp_lt_i32 s33, s55                                      // 000000006F5C: BF043721
	s_cbranch_scc0 label_11EA                                  // 000000006F60: BF840091
	s_mov_b32 s58, -1                                          // 000000006F64: BEBA00C1
	s_mov_b32 s59, 0                                           // 000000006F68: BEBB0080
	s_mov_b64 exec, s[58:59]                                   // 000000006F6C: BEFE013A
	global_atomic_pk_add_bf16 v4, v85, s[16:17]                // 000000006F70: DD488000 00105504
	s_addk_i32 s33, 0x1                                        // 000000006F78: B7210001
	s_cmp_lt_i32 s33, s55                                      // 000000006F7C: BF043721
	s_cbranch_scc0 label_11EA                                  // 000000006F80: BF840089
	s_mov_b32 s58, 0                                           // 000000006F84: BEBA0080
	s_mov_b32 s59, -1                                          // 000000006F88: BEBB00C1
	s_mov_b64 exec, s[58:59]                                   // 000000006F8C: BEFE013A
	global_atomic_pk_add_bf16 v4, v85, s[16:17]                // 000000006F90: DD488000 00105504
	s_addk_i32 s33, 0x1                                        // 000000006F98: B7210001
	s_mov_b32 s58, -1                                          // 000000006F9C: BEBA00C1
	s_mov_b32 s59, -1                                          // 000000006FA0: BEBB00C1
	s_mov_b64 exec, s[58:59]                                   // 000000006FA4: BEFE013A
	v_add_u32_e64 v4, v4, s31                                  // 000000006FA8: D1340004 00003F04
	s_cmp_lt_i32 s33, s55                                      // 000000006FB0: BF043721
	s_cbranch_scc0 label_11EA                                  // 000000006FB4: BF84007C
	s_mov_b32 s58, -1                                          // 000000006FB8: BEBA00C1
	s_mov_b32 s59, 0                                           // 000000006FBC: BEBB0080
	s_mov_b64 exec, s[58:59]                                   // 000000006FC0: BEFE013A
	global_atomic_pk_add_bf16 v4, v86, s[16:17]                // 000000006FC4: DD488000 00105604
	s_addk_i32 s33, 0x1                                        // 000000006FCC: B7210001
	s_cmp_lt_i32 s33, s55                                      // 000000006FD0: BF043721
	s_cbranch_scc0 label_11EA                                  // 000000006FD4: BF840074
	s_mov_b32 s58, 0                                           // 000000006FD8: BEBA0080
	s_mov_b32 s59, -1                                          // 000000006FDC: BEBB00C1
	s_mov_b64 exec, s[58:59]                                   // 000000006FE0: BEFE013A
	global_atomic_pk_add_bf16 v4, v86, s[16:17]                // 000000006FE4: DD488000 00105604
	s_addk_i32 s33, 0x1                                        // 000000006FEC: B7210001
	s_mov_b32 s58, -1                                          // 000000006FF0: BEBA00C1
	s_mov_b32 s59, -1                                          // 000000006FF4: BEBB00C1
	s_mov_b64 exec, s[58:59]                                   // 000000006FF8: BEFE013A
	v_add_u32_e64 v4, v4, s31                                  // 000000006FFC: D1340004 00003F04
	s_cmp_lt_i32 s33, s55                                      // 000000007004: BF043721
	s_cbranch_scc0 label_11EA                                  // 000000007008: BF840067
	s_mov_b32 s58, -1                                          // 00000000700C: BEBA00C1
	s_mov_b32 s59, 0                                           // 000000007010: BEBB0080
	s_mov_b64 exec, s[58:59]                                   // 000000007014: BEFE013A
	global_atomic_pk_add_bf16 v4, v87, s[16:17]                // 000000007018: DD488000 00105704
	s_addk_i32 s33, 0x1                                        // 000000007020: B7210001
	s_cmp_lt_i32 s33, s55                                      // 000000007024: BF043721
	s_cbranch_scc0 label_11EA                                  // 000000007028: BF84005F
	s_mov_b32 s58, 0                                           // 00000000702C: BEBA0080
	s_mov_b32 s59, -1                                          // 000000007030: BEBB00C1
	s_mov_b64 exec, s[58:59]                                   // 000000007034: BEFE013A
	global_atomic_pk_add_bf16 v4, v87, s[16:17]                // 000000007038: DD488000 00105704
	s_addk_i32 s33, 0x1                                        // 000000007040: B7210001
	s_mov_b32 s58, -1                                          // 000000007044: BEBA00C1
	s_mov_b32 s59, -1                                          // 000000007048: BEBB00C1
	s_mov_b64 exec, s[58:59]                                   // 00000000704C: BEFE013A
	v_add_u32_e64 v4, v4, s31                                  // 000000007050: D1340004 00003F04
	s_cmp_lt_i32 s33, s55                                      // 000000007058: BF043721
	s_cbranch_scc0 label_11EA                                  // 00000000705C: BF840052
	s_mov_b32 s58, -1                                          // 000000007060: BEBA00C1
	s_mov_b32 s59, 0                                           // 000000007064: BEBB0080
	s_mov_b64 exec, s[58:59]                                   // 000000007068: BEFE013A
	global_atomic_pk_add_bf16 v4, v88, s[16:17]                // 00000000706C: DD488000 00105804
	s_addk_i32 s33, 0x1                                        // 000000007074: B7210001
	s_cmp_lt_i32 s33, s55                                      // 000000007078: BF043721
	s_cbranch_scc0 label_11EA                                  // 00000000707C: BF84004A
	s_mov_b32 s58, 0                                           // 000000007080: BEBA0080
	s_mov_b32 s59, -1                                          // 000000007084: BEBB00C1
	s_mov_b64 exec, s[58:59]                                   // 000000007088: BEFE013A
	global_atomic_pk_add_bf16 v4, v88, s[16:17]                // 00000000708C: DD488000 00105804
	s_addk_i32 s33, 0x1                                        // 000000007094: B7210001
	s_mov_b32 s58, -1                                          // 000000007098: BEBA00C1
	s_mov_b32 s59, -1                                          // 00000000709C: BEBB00C1
	s_mov_b64 exec, s[58:59]                                   // 0000000070A0: BEFE013A
	v_add_u32_e64 v4, v4, s31                                  // 0000000070A4: D1340004 00003F04
	s_cmp_lt_i32 s33, s55                                      // 0000000070AC: BF043721
	s_cbranch_scc0 label_11EA                                  // 0000000070B0: BF84003D
	s_mov_b32 s58, -1                                          // 0000000070B4: BEBA00C1
	s_mov_b32 s59, 0                                           // 0000000070B8: BEBB0080
	s_mov_b64 exec, s[58:59]                                   // 0000000070BC: BEFE013A
	global_atomic_pk_add_bf16 v4, v89, s[16:17]                // 0000000070C0: DD488000 00105904
	s_addk_i32 s33, 0x1                                        // 0000000070C8: B7210001
	s_cmp_lt_i32 s33, s55                                      // 0000000070CC: BF043721
	s_cbranch_scc0 label_11EA                                  // 0000000070D0: BF840035
	s_mov_b32 s58, 0                                           // 0000000070D4: BEBA0080
	s_mov_b32 s59, -1                                          // 0000000070D8: BEBB00C1
	s_mov_b64 exec, s[58:59]                                   // 0000000070DC: BEFE013A
	global_atomic_pk_add_bf16 v4, v89, s[16:17]                // 0000000070E0: DD488000 00105904
	s_addk_i32 s33, 0x1                                        // 0000000070E8: B7210001
	s_mov_b32 s58, -1                                          // 0000000070EC: BEBA00C1
	s_mov_b32 s59, -1                                          // 0000000070F0: BEBB00C1
	s_mov_b64 exec, s[58:59]                                   // 0000000070F4: BEFE013A
	v_add_u32_e64 v4, v4, s31                                  // 0000000070F8: D1340004 00003F04
	s_cmp_lt_i32 s33, s55                                      // 000000007100: BF043721
	s_cbranch_scc0 label_11EA                                  // 000000007104: BF840028
	s_mov_b32 s58, -1                                          // 000000007108: BEBA00C1
	s_mov_b32 s59, 0                                           // 00000000710C: BEBB0080
	s_mov_b64 exec, s[58:59]                                   // 000000007110: BEFE013A
	global_atomic_pk_add_bf16 v4, v90, s[16:17]                // 000000007114: DD488000 00105A04
	s_addk_i32 s33, 0x1                                        // 00000000711C: B7210001
	s_cmp_lt_i32 s33, s55                                      // 000000007120: BF043721
	s_cbranch_scc0 label_11EA                                  // 000000007124: BF840020
	s_mov_b32 s58, 0                                           // 000000007128: BEBA0080
	s_mov_b32 s59, -1                                          // 00000000712C: BEBB00C1
	s_mov_b64 exec, s[58:59]                                   // 000000007130: BEFE013A
	global_atomic_pk_add_bf16 v4, v90, s[16:17]                // 000000007134: DD488000 00105A04
	s_addk_i32 s33, 0x1                                        // 00000000713C: B7210001
	s_mov_b32 s58, -1                                          // 000000007140: BEBA00C1
	s_mov_b32 s59, -1                                          // 000000007144: BEBB00C1
	s_mov_b64 exec, s[58:59]                                   // 000000007148: BEFE013A
	v_add_u32_e64 v4, v4, s31                                  // 00000000714C: D1340004 00003F04
	s_cmp_lt_i32 s33, s55                                      // 000000007154: BF043721
	s_cbranch_scc0 label_11EA                                  // 000000007158: BF840013
	s_mov_b32 s58, -1                                          // 00000000715C: BEBA00C1
	s_mov_b32 s59, 0                                           // 000000007160: BEBB0080
	s_mov_b64 exec, s[58:59]                                   // 000000007164: BEFE013A
	global_atomic_pk_add_bf16 v4, v91, s[16:17]                // 000000007168: DD488000 00105B04
	s_addk_i32 s33, 0x1                                        // 000000007170: B7210001
	s_cmp_lt_i32 s33, s55                                      // 000000007174: BF043721
	s_cbranch_scc0 label_11EA                                  // 000000007178: BF84000B
	s_mov_b32 s58, 0                                           // 00000000717C: BEBA0080
	s_mov_b32 s59, -1                                          // 000000007180: BEBB00C1
	s_mov_b64 exec, s[58:59]                                   // 000000007184: BEFE013A
	global_atomic_pk_add_bf16 v4, v91, s[16:17]                // 000000007188: DD488000 00105B04
	s_addk_i32 s33, 0x1                                        // 000000007190: B7210001
	s_mov_b32 s58, -1                                          // 000000007194: BEBA00C1
	s_mov_b32 s59, -1                                          // 000000007198: BEBB00C1
	s_mov_b64 exec, s[58:59]                                   // 00000000719C: BEFE013A
	v_add_u32_e64 v4, v4, s31                                  // 0000000071A0: D1340004 00003F04

00000000000071a8 <label_11EA>:
	s_barrier                                                  // 0000000071A8: BF8A0000
	s_cmp_eq_u32 s24, 0                                        // 0000000071AC: BF068018
	s_cbranch_scc0 label_12F3                                  // 0000000071B0: BF840106
	s_atomic_dec s52, s[40:41], s62                            // 0000000071B4: C2300D14 0000003E
	s_branch label_12F3                                        // 0000000071BC: BF820103

00000000000071c0 <label_11F0>:
	s_cmp_lt_u32 s54, 1                                        // 0000000071C0: BF0A8136
	s_cbranch_scc0 label_1203                                  // 0000000071C4: BF840011
	buffer_store_dwordx4 v[44:47], v12, s[16:19], 0 offen      // 0000000071C8: E07C1000 80042C0C
	buffer_store_dwordx4 v[48:51], v13, s[16:19], 0 offen      // 0000000071D0: E07C1000 8004300D
	buffer_store_dwordx4 v[52:55], v14, s[16:19], 0 offen      // 0000000071D8: E07C1000 8004340E
	buffer_store_dwordx4 v[56:59], v15, s[16:19], 0 offen      // 0000000071E0: E07C1000 8004380F
	buffer_store_dwordx4 v[60:63], v16, s[16:19], 0 offen      // 0000000071E8: E07C1000 80043C10
	buffer_store_dwordx4 v[64:67], v17, s[16:19], 0 offen      // 0000000071F0: E07C1000 80044011
	buffer_store_dwordx4 v[68:71], v18, s[16:19], 0 offen      // 0000000071F8: E07C1000 80044412
	buffer_store_dwordx4 v[72:75], v19, s[16:19], 0 offen      // 000000007200: E07C1000 80044813
	s_branch label_12F3                                        // 000000007208: BF8200F0

000000000000720c <label_1203>:
	v_cmp_u_f32_e64 s[60:61], v44, v44                         // 00000000720C: D048003C 0002592C
	v_add3_u32 v8, v44, v11, 1                                 // 000000007214: D1FF0008 0206172C
	v_cndmask_b32_e64 v4, v8, v10, s[60:61]                    // 00000000721C: D1000004 00F21508
	v_cmp_u_f32_e64 s[60:61], v45, v45                         // 000000007224: D048003C 00025B2D
	v_add3_u32 v8, v45, v11, 1                                 // 00000000722C: D1FF0008 0206172D
	v_cndmask_b32_e64 v5, v8, v10, s[60:61]                    // 000000007234: D1000005 00F21508
	v_perm_b32 v76, v5, v4, s35                                // 00000000723C: D1ED004C 008E0905
	v_cmp_u_f32_e64 s[60:61], v46, v46                         // 000000007244: D048003C 00025D2E
	v_add3_u32 v8, v46, v11, 1                                 // 00000000724C: D1FF0008 0206172E
	v_cndmask_b32_e64 v4, v8, v10, s[60:61]                    // 000000007254: D1000004 00F21508
	v_cmp_u_f32_e64 s[60:61], v47, v47                         // 00000000725C: D048003C 00025F2F
	v_add3_u32 v8, v47, v11, 1                                 // 000000007264: D1FF0008 0206172F
	v_cndmask_b32_e64 v5, v8, v10, s[60:61]                    // 00000000726C: D1000005 00F21508
	v_perm_b32 v77, v5, v4, s35                                // 000000007274: D1ED004D 008E0905
	buffer_store_dwordx2 v[76:77], v12, s[16:19], 0 offen      // 00000000727C: E0741000 80044C0C
	v_cmp_u_f32_e64 s[60:61], v48, v48                         // 000000007284: D048003C 00026130
	v_add3_u32 v8, v48, v11, 1                                 // 00000000728C: D1FF0008 02061730
	v_cndmask_b32_e64 v4, v8, v10, s[60:61]                    // 000000007294: D1000004 00F21508
	v_cmp_u_f32_e64 s[60:61], v49, v49                         // 00000000729C: D048003C 00026331
	v_add3_u32 v8, v49, v11, 1                                 // 0000000072A4: D1FF0008 02061731
	v_cndmask_b32_e64 v5, v8, v10, s[60:61]                    // 0000000072AC: D1000005 00F21508
	v_perm_b32 v78, v5, v4, s35                                // 0000000072B4: D1ED004E 008E0905
	v_cmp_u_f32_e64 s[60:61], v50, v50                         // 0000000072BC: D048003C 00026532
	v_add3_u32 v8, v50, v11, 1                                 // 0000000072C4: D1FF0008 02061732
	v_cndmask_b32_e64 v4, v8, v10, s[60:61]                    // 0000000072CC: D1000004 00F21508
	v_cmp_u_f32_e64 s[60:61], v51, v51                         // 0000000072D4: D048003C 00026733
	v_add3_u32 v8, v51, v11, 1                                 // 0000000072DC: D1FF0008 02061733
	v_cndmask_b32_e64 v5, v8, v10, s[60:61]                    // 0000000072E4: D1000005 00F21508
	v_perm_b32 v79, v5, v4, s35                                // 0000000072EC: D1ED004F 008E0905
	buffer_store_dwordx2 v[78:79], v13, s[16:19], 0 offen      // 0000000072F4: E0741000 80044E0D
	v_cmp_u_f32_e64 s[60:61], v52, v52                         // 0000000072FC: D048003C 00026934
	v_add3_u32 v8, v52, v11, 1                                 // 000000007304: D1FF0008 02061734
	v_cndmask_b32_e64 v4, v8, v10, s[60:61]                    // 00000000730C: D1000004 00F21508
	v_cmp_u_f32_e64 s[60:61], v53, v53                         // 000000007314: D048003C 00026B35
	v_add3_u32 v8, v53, v11, 1                                 // 00000000731C: D1FF0008 02061735
	v_cndmask_b32_e64 v5, v8, v10, s[60:61]                    // 000000007324: D1000005 00F21508
	v_perm_b32 v80, v5, v4, s35                                // 00000000732C: D1ED0050 008E0905
	v_cmp_u_f32_e64 s[60:61], v54, v54                         // 000000007334: D048003C 00026D36
	v_add3_u32 v8, v54, v11, 1                                 // 00000000733C: D1FF0008 02061736
	v_cndmask_b32_e64 v4, v8, v10, s[60:61]                    // 000000007344: D1000004 00F21508
	v_cmp_u_f32_e64 s[60:61], v55, v55                         // 00000000734C: D048003C 00026F37
	v_add3_u32 v8, v55, v11, 1                                 // 000000007354: D1FF0008 02061737
	v_cndmask_b32_e64 v5, v8, v10, s[60:61]                    // 00000000735C: D1000005 00F21508
	v_perm_b32 v81, v5, v4, s35                                // 000000007364: D1ED0051 008E0905
	buffer_store_dwordx2 v[80:81], v14, s[16:19], 0 offen      // 00000000736C: E0741000 8004500E
	v_cmp_u_f32_e64 s[60:61], v56, v56                         // 000000007374: D048003C 00027138
	v_add3_u32 v8, v56, v11, 1                                 // 00000000737C: D1FF0008 02061738
	v_cndmask_b32_e64 v4, v8, v10, s[60:61]                    // 000000007384: D1000004 00F21508
	v_cmp_u_f32_e64 s[60:61], v57, v57                         // 00000000738C: D048003C 00027339
	v_add3_u32 v8, v57, v11, 1                                 // 000000007394: D1FF0008 02061739
	v_cndmask_b32_e64 v5, v8, v10, s[60:61]                    // 00000000739C: D1000005 00F21508
	v_perm_b32 v82, v5, v4, s35                                // 0000000073A4: D1ED0052 008E0905
	v_cmp_u_f32_e64 s[60:61], v58, v58                         // 0000000073AC: D048003C 0002753A
	v_add3_u32 v8, v58, v11, 1                                 // 0000000073B4: D1FF0008 0206173A
	v_cndmask_b32_e64 v4, v8, v10, s[60:61]                    // 0000000073BC: D1000004 00F21508
	v_cmp_u_f32_e64 s[60:61], v59, v59                         // 0000000073C4: D048003C 0002773B
	v_add3_u32 v8, v59, v11, 1                                 // 0000000073CC: D1FF0008 0206173B
	v_cndmask_b32_e64 v5, v8, v10, s[60:61]                    // 0000000073D4: D1000005 00F21508
	v_perm_b32 v83, v5, v4, s35                                // 0000000073DC: D1ED0053 008E0905
	buffer_store_dwordx2 v[82:83], v15, s[16:19], 0 offen      // 0000000073E4: E0741000 8004520F
	v_cmp_u_f32_e64 s[60:61], v60, v60                         // 0000000073EC: D048003C 0002793C
	v_add3_u32 v8, v60, v11, 1                                 // 0000000073F4: D1FF0008 0206173C
	v_cndmask_b32_e64 v4, v8, v10, s[60:61]                    // 0000000073FC: D1000004 00F21508
	v_cmp_u_f32_e64 s[60:61], v61, v61                         // 000000007404: D048003C 00027B3D
	v_add3_u32 v8, v61, v11, 1                                 // 00000000740C: D1FF0008 0206173D
	v_cndmask_b32_e64 v5, v8, v10, s[60:61]                    // 000000007414: D1000005 00F21508
	v_perm_b32 v84, v5, v4, s35                                // 00000000741C: D1ED0054 008E0905
	v_cmp_u_f32_e64 s[60:61], v62, v62                         // 000000007424: D048003C 00027D3E
	v_add3_u32 v8, v62, v11, 1                                 // 00000000742C: D1FF0008 0206173E
	v_cndmask_b32_e64 v4, v8, v10, s[60:61]                    // 000000007434: D1000004 00F21508
	v_cmp_u_f32_e64 s[60:61], v63, v63                         // 00000000743C: D048003C 00027F3F
	v_add3_u32 v8, v63, v11, 1                                 // 000000007444: D1FF0008 0206173F
	v_cndmask_b32_e64 v5, v8, v10, s[60:61]                    // 00000000744C: D1000005 00F21508
	v_perm_b32 v85, v5, v4, s35                                // 000000007454: D1ED0055 008E0905
	buffer_store_dwordx2 v[84:85], v16, s[16:19], 0 offen      // 00000000745C: E0741000 80045410
	v_cmp_u_f32_e64 s[60:61], v64, v64                         // 000000007464: D048003C 00028140
	v_add3_u32 v8, v64, v11, 1                                 // 00000000746C: D1FF0008 02061740
	v_cndmask_b32_e64 v4, v8, v10, s[60:61]                    // 000000007474: D1000004 00F21508
	v_cmp_u_f32_e64 s[60:61], v65, v65                         // 00000000747C: D048003C 00028341
	v_add3_u32 v8, v65, v11, 1                                 // 000000007484: D1FF0008 02061741
	v_cndmask_b32_e64 v5, v8, v10, s[60:61]                    // 00000000748C: D1000005 00F21508
	v_perm_b32 v86, v5, v4, s35                                // 000000007494: D1ED0056 008E0905
	v_cmp_u_f32_e64 s[60:61], v66, v66                         // 00000000749C: D048003C 00028542
	v_add3_u32 v8, v66, v11, 1                                 // 0000000074A4: D1FF0008 02061742
	v_cndmask_b32_e64 v4, v8, v10, s[60:61]                    // 0000000074AC: D1000004 00F21508
	v_cmp_u_f32_e64 s[60:61], v67, v67                         // 0000000074B4: D048003C 00028743
	v_add3_u32 v8, v67, v11, 1                                 // 0000000074BC: D1FF0008 02061743
	v_cndmask_b32_e64 v5, v8, v10, s[60:61]                    // 0000000074C4: D1000005 00F21508
	v_perm_b32 v87, v5, v4, s35                                // 0000000074CC: D1ED0057 008E0905
	buffer_store_dwordx2 v[86:87], v17, s[16:19], 0 offen      // 0000000074D4: E0741000 80045611
	v_cmp_u_f32_e64 s[60:61], v68, v68                         // 0000000074DC: D048003C 00028944
	v_add3_u32 v8, v68, v11, 1                                 // 0000000074E4: D1FF0008 02061744
	v_cndmask_b32_e64 v4, v8, v10, s[60:61]                    // 0000000074EC: D1000004 00F21508
	v_cmp_u_f32_e64 s[60:61], v69, v69                         // 0000000074F4: D048003C 00028B45
	v_add3_u32 v8, v69, v11, 1                                 // 0000000074FC: D1FF0008 02061745
	v_cndmask_b32_e64 v5, v8, v10, s[60:61]                    // 000000007504: D1000005 00F21508
	v_perm_b32 v88, v5, v4, s35                                // 00000000750C: D1ED0058 008E0905
	v_cmp_u_f32_e64 s[60:61], v70, v70                         // 000000007514: D048003C 00028D46
	v_add3_u32 v8, v70, v11, 1                                 // 00000000751C: D1FF0008 02061746
	v_cndmask_b32_e64 v4, v8, v10, s[60:61]                    // 000000007524: D1000004 00F21508
	v_cmp_u_f32_e64 s[60:61], v71, v71                         // 00000000752C: D048003C 00028F47
	v_add3_u32 v8, v71, v11, 1                                 // 000000007534: D1FF0008 02061747
	v_cndmask_b32_e64 v5, v8, v10, s[60:61]                    // 00000000753C: D1000005 00F21508
	v_perm_b32 v89, v5, v4, s35                                // 000000007544: D1ED0059 008E0905
	buffer_store_dwordx2 v[88:89], v18, s[16:19], 0 offen      // 00000000754C: E0741000 80045812
	v_cmp_u_f32_e64 s[60:61], v72, v72                         // 000000007554: D048003C 00029148
	v_add3_u32 v8, v72, v11, 1                                 // 00000000755C: D1FF0008 02061748
	v_cndmask_b32_e64 v4, v8, v10, s[60:61]                    // 000000007564: D1000004 00F21508
	v_cmp_u_f32_e64 s[60:61], v73, v73                         // 00000000756C: D048003C 00029349
	v_add3_u32 v8, v73, v11, 1                                 // 000000007574: D1FF0008 02061749
	v_cndmask_b32_e64 v5, v8, v10, s[60:61]                    // 00000000757C: D1000005 00F21508
	v_perm_b32 v90, v5, v4, s35                                // 000000007584: D1ED005A 008E0905
	v_cmp_u_f32_e64 s[60:61], v74, v74                         // 00000000758C: D048003C 0002954A
	v_add3_u32 v8, v74, v11, 1                                 // 000000007594: D1FF0008 0206174A
	v_cndmask_b32_e64 v4, v8, v10, s[60:61]                    // 00000000759C: D1000004 00F21508
	v_cmp_u_f32_e64 s[60:61], v75, v75                         // 0000000075A4: D048003C 0002974B
	v_add3_u32 v8, v75, v11, 1                                 // 0000000075AC: D1FF0008 0206174B
	v_cndmask_b32_e64 v5, v8, v10, s[60:61]                    // 0000000075B4: D1000005 00F21508
	v_perm_b32 v91, v5, v4, s35                                // 0000000075BC: D1ED005B 008E0905
	buffer_store_dwordx2 v[90:91], v19, s[16:19], 0 offen      // 0000000075C4: E0741000 80045A13

00000000000075cc <label_12F3>:
	s_waitcnt vmcnt(0) expcnt(0) lgkmcnt(0)                    // 0000000075CC: BF8C0000
	s_endpgm                                                   // 0000000075D0: BF810000
